;; amdgpu-corpus repo=ROCm/aiter kind=harvested arch=n/a opt=n/a

/root/src/amdgpu-assembly/repos/ROCm__aiter/hsa/gfx942/fmoe_fp8_g1u1_multix_subGU_384.co:	file format elf64-amdgpu

Disassembly of section .text:

0000000000002b00 <fmoe_fp8_g1u1_multix_subGU_384>:
	s_and_b32 s1, s1, 0xffff                                   // 000000002B00: 8601FF01 0000FFFF
	s_load_dwordx2 s[8:9], s[0:1], 0x0                         // 000000002B08: C0060200 00000000
	s_load_dwordx2 s[20:21], s[0:1], 0x10                      // 000000002B10: C0060500 00000010
	s_load_dwordx2 s[24:25], s[0:1], 0x20                      // 000000002B18: C0060600 00000020
	s_load_dwordx2 s[50:51], s[0:1], 0x30                      // 000000002B20: C0060C80 00000030
	s_load_dwordx2 s[12:13], s[0:1], 0x40                      // 000000002B28: C0060300 00000040
	s_load_dwordx2 s[28:29], s[0:1], 0x50                      // 000000002B30: C0060700 00000050
	s_load_dwordx2 s[32:33], s[0:1], 0x60                      // 000000002B38: C0060800 00000060
	s_load_dwordx2 s[16:17], s[0:1], 0x70                      // 000000002B40: C0060400 00000070
	s_load_dwordx2 s[36:37], s[0:1], 0x80                      // 000000002B48: C0060900 00000080
	s_load_dwordx2 s[44:45], s[0:1], 0x90                      // 000000002B50: C0060B00 00000090
	s_load_dwordx2 s[40:41], s[0:1], 0xa0                      // 000000002B58: C0060A00 000000A0
	s_load_dwordx2 s[46:47], s[0:1], 0xb0                      // 000000002B60: C0060B80 000000B0
	s_load_dword s64, s[0:1], 0xc0                             // 000000002B68: C0021000 000000C0
	s_load_dword s65, s[0:1], 0xd0                             // 000000002B70: C0021040 000000D0
	s_load_dword s66, s[0:1], 0xe0                             // 000000002B78: C0021080 000000E0
	s_load_dword s67, s[0:1], 0xf0                             // 000000002B80: C00210C0 000000F0
	s_load_dword s68, s[0:1], 0x100                            // 000000002B88: C0021100 00000100
	s_load_dword s69, s[0:1], 0x110                            // 000000002B90: C0021140 00000110
	s_load_dword s70, s[0:1], 0x120                            // 000000002B98: C0021180 00000120
	s_load_dword s71, s[0:1], 0x130                            // 000000002BA0: C00211C0 00000130
	s_load_dword s72, s[0:1], 0x140                            // 000000002BA8: C0021200 00000140
	s_load_dword s73, s[0:1], 0x150                            // 000000002BB0: C0021240 00000150
	s_load_dword s74, s[0:1], 0x160                            // 000000002BB8: C0021280 00000160
	s_load_dword s75, s[0:1], 0x170                            // 000000002BC0: C00212C0 00000170
	s_load_dword s76, s[0:1], 0x180                            // 000000002BC8: C0021300 00000180
	s_load_dword s63, s[0:1], 0x190                            // 000000002BD0: C0020FC0 00000190
	v_lshrrev_b32_e32 v1, 10, v0                               // 000000002BD8: 2002008A
	v_lshrrev_b32_e32 v2, 10, v1                               // 000000002BDC: 2004028A
	v_and_b32_e32 v2, 0x3ff, v2                                // 000000002BE0: 260404FF 000003FF
	v_and_b32_e32 v1, 0x3ff, v1                                // 000000002BE8: 260202FF 000003FF
	v_and_b32_e32 v0, 0x3ff, v0                                // 000000002BF0: 260000FF 000003FF
	v_lshrrev_b32_e32 v3, 6, v0                                // 000000002BF8: 20060086
	v_and_b32_e32 v0, 63, v0                                   // 000000002BFC: 260000BF
	s_mov_b32 s2, s2                                           // 000000002C00: BE820002
	s_mov_b32 s3, s3                                           // 000000002C04: BE830003
	s_mov_b32 s4, s4                                           // 000000002C08: BE840004
	v_readfirstlane_b32 s7, v3                                 // 000000002C0C: 7E0E0503
	s_waitcnt lgkmcnt(0)                                       // 000000002C10: BF8CC07F
	s_and_b32 s51, s51, 0xffff                                 // 000000002C14: 8633FF33 0000FFFF
	s_load_dword s50, s[50:51], 0x0                            // 000000002C1C: C0020C99 00000000
	s_and_b32 s45, s45, 0xffff                                 // 000000002C24: 862DFF2D 0000FFFF
	s_and_b32 s47, s47, 0xffff                                 // 000000002C2C: 862FFF2F 0000FFFF
	s_and_b32 s9, s9, 0xffff                                   // 000000002C34: 8609FF09 0000FFFF
	s_mul_i32 s60, s66, s68                                    // 000000002C3C: 923C4442
	s_mul_i32 s60, s63, s60                                    // 000000002C40: 923C3C3F
	s_mul_i32 s61, s66, 4                                      // 000000002C44: 923D8442
	s_mul_i32 s61, s63, s61                                    // 000000002C48: 923D3D3F
	s_mov_b32 s22, s60                                         // 000000002C4C: BE96003C
	s_mov_b32 s26, 0x80000000                                  // 000000002C50: BE9A00FF 80000000
	s_mov_b32 s14, 0x80000000                                  // 000000002C58: BE8E00FF 80000000
	s_mov_b32 s42, 0x80000000                                  // 000000002C60: BEAA00FF 80000000
	s_mov_b32 s30, s61                                         // 000000002C68: BE9E003D
	s_mov_b32 s34, 0x600                                       // 000000002C6C: BEA200FF 00000600
	s_mov_b32 s38, 0x600                                       // 000000002C74: BEA600FF 00000600
	s_mov_b32 s18, 0x80000000                                  // 000000002C7C: BE9200FF 80000000
	s_mov_b32 s23, 0x20000                                     // 000000002C84: BE9700FF 00020000
	s_mov_b32 s27, 0x20000                                     // 000000002C8C: BE9B00FF 00020000
	s_mov_b32 s15, 0x20000                                     // 000000002C94: BE8F00FF 00020000
	s_mov_b32 s43, 0x20000                                     // 000000002C9C: BEAB00FF 00020000
	s_mov_b32 s31, 0x20000                                     // 000000002CA4: BE9F00FF 00020000
	s_mov_b32 s35, 0x20000                                     // 000000002CAC: BEA300FF 00020000
	s_mov_b32 s39, 0x20000                                     // 000000002CB4: BEA700FF 00020000
	s_mov_b32 s19, 0x20000                                     // 000000002CBC: BE9300FF 00020000
	s_and_b32 s21, s21, 0xffff                                 // 000000002CC4: 8615FF15 0000FFFF
	s_and_b32 s25, s25, 0xffff                                 // 000000002CCC: 8619FF19 0000FFFF
	s_and_b32 s13, s13, 0xffff                                 // 000000002CD4: 860DFF0D 0000FFFF
	s_and_b32 s41, s41, 0xffff                                 // 000000002CDC: 8629FF29 0000FFFF
	s_and_b32 s29, s29, 0xffff                                 // 000000002CE4: 861DFF1D 0000FFFF
	s_and_b32 s33, s33, 0xffff                                 // 000000002CEC: 8621FF21 0000FFFF
	s_and_b32 s37, s37, 0xffff                                 // 000000002CF4: 8625FF25 0000FFFF
	s_and_b32 s17, s17, 0xffff                                 // 000000002CFC: 8611FF11 0000FFFF
	s_or_b32 s21, s21, 0x40000                                 // 000000002D04: 8715FF15 00040000
	s_or_b32 s25, s25, 0x40000                                 // 000000002D0C: 8719FF19 00040000
	s_or_b32 s13, s13, 0x40000                                 // 000000002D14: 870DFF0D 00040000
	s_or_b32 s41, s41, 0x40000                                 // 000000002D1C: 8729FF29 00040000
	s_or_b32 s29, s29, 0x40000                                 // 000000002D24: 871DFF1D 00040000
	s_or_b32 s33, s33, 0x40000                                 // 000000002D2C: 8721FF21 00040000
	s_or_b32 s37, s37, 0x40000                                 // 000000002D34: 8725FF25 00040000
	s_or_b32 s17, s17, 0x40000                                 // 000000002D3C: 8711FF11 00040000
	v_accvgpr_write_b32 a191, 0                                // 000000002D44: D3D940BF 18000080
	v_mov_b32_e32 v239, 0                                      // 000000002D4C: 7FDE0280
	s_waitcnt lgkmcnt(0)                                       // 000000002D50: BF8CC07F
	s_mul_i32 s60, s3, 32                                      // 000000002D54: 923CA003
	s_cmp_lt_i32 s60, s50                                      // 000000002D58: BF04323C
	s_cbranch_scc0 label_206F                                  // 000000002D5C: BF841FD7
	s_mov_b32 s80, 0                                           // 000000002D60: BED00080
	s_mov_b32 s81, s64                                         // 000000002D64: BED10040
	s_mul_i32 s60, s3, 4                                       // 000000002D68: 923C8403
	s_add_u32 s46, s60, s46                                    // 000000002D6C: 802E2E3C
	s_addc_u32 s47, 0, s47                                     // 000000002D70: 822F2F80
	s_load_dword s5, s[46:47], 0x0                             // 000000002D74: C0020157 00000000
	s_mul_i32 s60, s3, 32                                      // 000000002D7C: 923CA003
	s_mul_i32 s60, 4, s60                                      // 000000002D80: 923C3C84
	v_and_b32_e32 v50, 15, v0                                  // 000000002D84: 2664008F
	v_lshlrev_b32_e32 v50, 2, v50                              // 000000002D88: 24646482
	v_add_u32_e32 v50, s60, v50                                // 000000002D8C: 6864643C
	v_mov_b32_e32 v51, 0                                       // 000000002D90: 7E660280
	global_load_dword v6, v50, s[44:45]                        // 000000002D94: DC508000 062C0032
	v_add_u32_e32 v50, 64, v50                                 // 000000002D9C: 686464C0
	global_load_dword v7, v50, s[44:45]                        // 000000002DA0: DC508000 072C0032
	s_mul_i32 s60, s3, 32                                      // 000000002DA8: 923CA003
	s_add_u32 s60, s7, s60                                     // 000000002DAC: 803C3C07
	s_mul_i32 s60, 4, s60                                      // 000000002DB0: 923C3C84
	s_add_u32 s44, s60, s44                                    // 000000002DB4: 802C2C3C
	s_addc_u32 s45, 0, s45                                     // 000000002DB8: 822D2D80
	s_load_dword s82, s[44:45], 0x0                            // 000000002DBC: C0021496 00000000
	s_load_dword s83, s[44:45], 0x10                           // 000000002DC4: C00214D6 00000010
	s_load_dword s84, s[44:45], 0x20                           // 000000002DCC: C0021516 00000020
	s_load_dword s85, s[44:45], 0x30                           // 000000002DD4: C0021556 00000030
	s_load_dword s86, s[44:45], 0x40                           // 000000002DDC: C0021596 00000040
	s_load_dword s87, s[44:45], 0x50                           // 000000002DE4: C00215D6 00000050
	s_load_dword s88, s[44:45], 0x60                           // 000000002DEC: C0021616 00000060
	s_load_dword s89, s[44:45], 0x70                           // 000000002DF4: C0021656 00000070
	s_waitcnt lgkmcnt(0)                                       // 000000002DFC: BF8CC07F
	v_lshlrev_b32_e32 v50, 2, v0                               // 000000002E00: 24640082
	s_lshr_b32 s61, s82, 24                                    // 000000002E04: 8F3D9852
	s_mul_i32 s61, s61, s68                                    // 000000002E08: 923D443D
	s_mul_i32 s61, s61, s66                                    // 000000002E0C: 923D423D
	s_and_b32 s82, s82, 0xffffff                               // 000000002E10: 8652FF52 00FFFFFF
	s_mul_i32 s60, s82, s68                                    // 000000002E18: 923C4452
	s_add_u32 s60, s61, s60                                    // 000000002E1C: 803C3C3D
	v_add_u32_e64 v26, v50, s60                                // 000000002E20: D134001A 00007932
	s_lshr_b32 s61, s83, 24                                    // 000000002E28: 8F3D9853
	s_mul_i32 s61, s61, s68                                    // 000000002E2C: 923D443D
	s_mul_i32 s61, s61, s66                                    // 000000002E30: 923D423D
	s_and_b32 s83, s83, 0xffffff                               // 000000002E34: 8653FF53 00FFFFFF
	s_mul_i32 s60, s83, s68                                    // 000000002E3C: 923C4453
	s_add_u32 s60, s61, s60                                    // 000000002E40: 803C3C3D
	v_add_u32_e64 v27, v50, s60                                // 000000002E44: D134001B 00007932
	s_lshr_b32 s61, s84, 24                                    // 000000002E4C: 8F3D9854
	s_mul_i32 s61, s61, s68                                    // 000000002E50: 923D443D
	s_mul_i32 s61, s61, s66                                    // 000000002E54: 923D423D
	s_and_b32 s84, s84, 0xffffff                               // 000000002E58: 8654FF54 00FFFFFF
	s_mul_i32 s60, s84, s68                                    // 000000002E60: 923C4454
	s_add_u32 s60, s61, s60                                    // 000000002E64: 803C3C3D
	v_add_u32_e64 v28, v50, s60                                // 000000002E68: D134001C 00007932
	s_lshr_b32 s61, s85, 24                                    // 000000002E70: 8F3D9855
	s_mul_i32 s61, s61, s68                                    // 000000002E74: 923D443D
	s_mul_i32 s61, s61, s66                                    // 000000002E78: 923D423D
	s_and_b32 s85, s85, 0xffffff                               // 000000002E7C: 8655FF55 00FFFFFF
	s_mul_i32 s60, s85, s68                                    // 000000002E84: 923C4455
	s_add_u32 s60, s61, s60                                    // 000000002E88: 803C3C3D
	v_add_u32_e64 v29, v50, s60                                // 000000002E8C: D134001D 00007932
	s_lshr_b32 s61, s86, 24                                    // 000000002E94: 8F3D9856
	s_mul_i32 s61, s61, s68                                    // 000000002E98: 923D443D
	s_mul_i32 s61, s61, s66                                    // 000000002E9C: 923D423D
	s_and_b32 s86, s86, 0xffffff                               // 000000002EA0: 8656FF56 00FFFFFF
	s_mul_i32 s60, s86, s68                                    // 000000002EA8: 923C4456
	s_add_u32 s60, s61, s60                                    // 000000002EAC: 803C3C3D
	v_add_u32_e64 v30, v50, s60                                // 000000002EB0: D134001E 00007932
	s_lshr_b32 s61, s87, 24                                    // 000000002EB8: 8F3D9857
	s_mul_i32 s61, s61, s68                                    // 000000002EBC: 923D443D
	s_mul_i32 s61, s61, s66                                    // 000000002EC0: 923D423D
	s_and_b32 s87, s87, 0xffffff                               // 000000002EC4: 8657FF57 00FFFFFF
	s_mul_i32 s60, s87, s68                                    // 000000002ECC: 923C4457
	s_add_u32 s60, s61, s60                                    // 000000002ED0: 803C3C3D
	v_add_u32_e64 v31, v50, s60                                // 000000002ED4: D134001F 00007932
	s_lshr_b32 s61, s88, 24                                    // 000000002EDC: 8F3D9858
	s_mul_i32 s61, s61, s68                                    // 000000002EE0: 923D443D
	s_mul_i32 s61, s61, s66                                    // 000000002EE4: 923D423D
	s_and_b32 s88, s88, 0xffffff                               // 000000002EE8: 8658FF58 00FFFFFF
	s_mul_i32 s60, s88, s68                                    // 000000002EF0: 923C4458
	s_add_u32 s60, s61, s60                                    // 000000002EF4: 803C3C3D
	v_add_u32_e64 v32, v50, s60                                // 000000002EF8: D1340020 00007932
	s_lshr_b32 s61, s89, 24                                    // 000000002F00: 8F3D9859
	s_mul_i32 s61, s61, s68                                    // 000000002F04: 923D443D
	s_mul_i32 s61, s61, s66                                    // 000000002F08: 923D423D
	s_and_b32 s89, s89, 0xffffff                               // 000000002F0C: 8659FF59 00FFFFFF
	s_mul_i32 s60, s89, s68                                    // 000000002F14: 923C4459
	s_add_u32 s60, s61, s60                                    // 000000002F18: 803C3C3D
	v_add_u32_e64 v33, v50, s60                                // 000000002F1C: D1340021 00007932
	v_lshlrev_b32_e32 v50, 2, v0                               // 000000002F24: 24640082
	s_mul_i32 s60, s82, s71                                    // 000000002F28: 923C4752
	v_add_u32_e64 v80, v50, s60                                // 000000002F2C: D1340050 00007932
	v_mov_b32_e32 v81, 0                                       // 000000002F34: 7EA20280
	s_mul_i32 s60, s83, s71                                    // 000000002F38: 923C4753
	v_add_u32_e64 v82, v50, s60                                // 000000002F3C: D1340052 00007932
	v_mov_b32_e32 v83, 0                                       // 000000002F44: 7EA60280
	s_mul_i32 s60, s84, s71                                    // 000000002F48: 923C4754
	v_add_u32_e64 v84, v50, s60                                // 000000002F4C: D1340054 00007932
	v_mov_b32_e32 v85, 0                                       // 000000002F54: 7EAA0280
	s_mul_i32 s60, s85, s71                                    // 000000002F58: 923C4755
	v_add_u32_e64 v86, v50, s60                                // 000000002F5C: D1340056 00007932
	v_mov_b32_e32 v87, 0                                       // 000000002F64: 7EAE0280
	s_mul_i32 s60, s86, s71                                    // 000000002F68: 923C4756
	v_add_u32_e64 v88, v50, s60                                // 000000002F6C: D1340058 00007932
	v_mov_b32_e32 v89, 0                                       // 000000002F74: 7EB20280
	s_mul_i32 s60, s87, s71                                    // 000000002F78: 923C4757
	v_add_u32_e64 v90, v50, s60                                // 000000002F7C: D134005A 00007932
	v_mov_b32_e32 v91, 0                                       // 000000002F84: 7EB60280
	s_mul_i32 s60, s88, s71                                    // 000000002F88: 923C4758
	v_add_u32_e64 v92, v50, s60                                // 000000002F8C: D134005C 00007932
	v_mov_b32_e32 v93, 0                                       // 000000002F94: 7EBA0280
	s_mul_i32 s60, s89, s71                                    // 000000002F98: 923C4759
	v_add_u32_e64 v94, v50, s60                                // 000000002F9C: D134005E 00007932
	v_mov_b32_e32 v95, 0                                       // 000000002FA4: 7EBE0280
	s_mul_i32 s60, s7, 0x820                                   // 000000002FA8: 923CFF07 00000820
	s_add_u32 s50, 0, s60                                      // 000000002FB0: 80323C80
	s_add_u32 s51, 0x2080, s50                                 // 000000002FB4: 803332FF 00002080
	v_lshrrev_b32_e32 v50, 4, v0                               // 000000002FBC: 20640084
	v_lshlrev_b32_e32 v51, 2, v50                              // 000000002FC0: 24666482
	v_and_b32_e32 v50, 15, v0                                  // 000000002FC4: 2664008F
	v_lshrrev_b32_e32 v52, 2, v50                              // 000000002FC8: 20686482
	v_lshlrev_b32_e32 v52, 6, v52                              // 000000002FCC: 24686886
	v_add_u32_e32 v51, v52, v51                                // 000000002FD0: 68666734
	v_and_b32_e32 v50, 3, v0                                   // 000000002FD4: 26640083
	v_mul_i32_i24_e32 v52, 0x208, v50                          // 000000002FD8: 0C6864FF 00000208
	v_add_u32_e32 v51, v52, v51                                // 000000002FE0: 68666734
	v_lshlrev_b32_e32 v2, 2, v51                               // 000000002FE4: 24046682
	s_mul_i32 s60, s2, 0x180                                   // 000000002FE8: 923CFF02 00000180
	s_mul_i32 s60, s60, s69                                    // 000000002FF0: 923C453C
	s_mul_i32 s61, s5, s72                                     // 000000002FF4: 923D4805
	s_add_u32 s60, s61, s60                                    // 000000002FF8: 803C3C3D
	s_add_u32 s24, s60, s24                                    // 000000002FFC: 8018183C
	s_addc_u32 s25, 0, s25                                     // 000000003000: 82191980
	s_mul_i32 s60, s7, 16                                      // 000000003004: 923C9007
	s_mul_i32 s60, s60, s69                                    // 000000003008: 923C453C
	v_lshlrev_b32_e32 v34, 4, v0                               // 00000000300C: 24440084
	v_add_u32_e32 v34, s60, v34                                // 000000003010: 6844443C
	s_mul_i32 s60, 64, s69                                     // 000000003014: 923C45C0
	v_add_u32_e32 v35, s60, v34                                // 000000003018: 6846443C
	v_add_u32_e32 v36, s60, v35                                // 00000000301C: 6848463C
	v_add_u32_e32 v37, s60, v36                                // 000000003020: 684A483C
	v_add_u32_e32 v38, s60, v37                                // 000000003024: 684C4A3C
	v_add_u32_e32 v39, s60, v38                                // 000000003028: 684E4C3C
	s_mov_b32 s92, s24                                         // 00000000302C: BEDC0018
	s_mov_b32 s93, s25                                         // 000000003030: BEDD0019
	s_mov_b32 s94, s26                                         // 000000003034: BEDE001A
	s_mov_b32 s95, s27                                         // 000000003038: BEDF001B
	s_mul_i32 s60, s69, s65                                    // 00000000303C: 923C4145
	s_add_u32 s92, s60, s92                                    // 000000003040: 805C5C3C
	s_addc_u32 s93, 0, s93                                     // 000000003044: 825D5D80
	s_mul_i32 s60, s2, 0x1800                                  // 000000003048: 923CFF02 00001800
	s_mul_i32 s61, s5, s73                                     // 000000003050: 923D4905
	s_add_u32 s60, s61, s60                                    // 000000003054: 803C3C3D
	s_add_u32 s12, s60, s12                                    // 000000003058: 800C0C3C
	s_addc_u32 s13, 0, s13                                     // 00000000305C: 820D0D80
	s_mul_i32 s60, s7, 16                                      // 000000003060: 923C9007
	s_mul_i32 s60, s60, s70                                    // 000000003064: 923C463C
	v_lshlrev_b32_e32 v40, 4, v0                               // 000000003068: 24500084
	v_add_u32_e32 v40, s60, v40                                // 00000000306C: 6850503C
	s_mul_i32 s60, 64, s70                                     // 000000003070: 923C46C0
	v_add_u32_e32 v41, s60, v40                                // 000000003074: 6852503C
	v_add_u32_e32 v42, s60, v41                                // 000000003078: 6854523C
	v_add_u32_e32 v43, s60, v42                                // 00000000307C: 6856543C
	s_mul_i32 s60, s70, 0x100                                  // 000000003080: 923CFF46 00000100
	s_mov_b32 s78, 0x400                                       // 000000003088: BECE00FF 00000400
	s_mul_i32 s61, s78, 5                                      // 000000003090: 923D854E
	s_sub_u32 s56, s60, s61                                    // 000000003094: 80B83D3C
	s_mul_i32 s60, s3, 32                                      // 000000003098: 923CA003
	s_mul_i32 s60, 4, s60                                      // 00000000309C: 923C3C84
	s_add_u32 s40, s60, s40                                    // 0000000030A0: 8028283C
	s_addc_u32 s41, 0, s41                                     // 0000000030A4: 82292980
	v_and_b32_e32 v50, 15, v0                                  // 0000000030A8: 2664008F
	v_lshlrev_b32_e32 v8, 2, v50                               // 0000000030AC: 24106482
	v_add_u32_e32 v9, 64, v8                                   // 0000000030B0: 681210C0
	v_lshrrev_b32_e32 v50, 4, v0                               // 0000000030B4: 20640084
	v_lshlrev_b32_e32 v51, 2, v50                              // 0000000030B8: 24666482
	v_and_b32_e32 v50, 15, v0                                  // 0000000030BC: 2664008F
	v_lshrrev_b32_e32 v52, 2, v50                              // 0000000030C0: 20686482
	v_lshlrev_b32_e32 v52, 6, v52                              // 0000000030C4: 24686886
	v_add_u32_e32 v51, v52, v51                                // 0000000030C8: 68666734
	v_and_b32_e32 v50, 3, v0                                   // 0000000030CC: 26640083
	v_add_u32_e32 v51, v50, v51                                // 0000000030D0: 68666732
	v_lshlrev_b32_e32 v10, 2, v51                              // 0000000030D4: 24146682
	v_add_u32_e32 v11, 0x400, v10                              // 0000000030D8: 681614FF 00000400
	s_mul_i32 s60, s7, 16                                      // 0000000030E0: 923C9007
	s_mul_i32 s60, s60, 4                                      // 0000000030E4: 923C843C
	v_add_u32_e32 v10, s60, v10                                // 0000000030E8: 6814143C
	v_add_u32_e32 v11, s60, v11                                // 0000000030EC: 6816163C
	v_mov_b32_e32 v5, v10                                      // 0000000030F0: 7E0A030A
	s_mul_i32 s60, s2, 0x180                                   // 0000000030F4: 923CFF02 00000180
	s_mul_i32 s60, s60, 4                                      // 0000000030FC: 923C843C
	s_mul_i32 s61, s5, s74                                     // 000000003100: 923D4A05
	s_add_u32 s61, s61, s60                                    // 000000003104: 803D3C3D
	s_mul_i32 s62, s5, s76                                     // 000000003108: 923E4C05
	s_add_u32 s62, s62, s60                                    // 00000000310C: 803E3C3E
	s_add_u32 s32, s61, s32                                    // 000000003110: 8020203D
	s_addc_u32 s33, 0, s33                                     // 000000003114: 82212180
	s_add_u32 s36, s62, s36                                    // 000000003118: 8024243E
	s_addc_u32 s37, 0, s37                                     // 00000000311C: 82252580
	s_mul_i32 s60, s5, s75                                     // 000000003120: 923C4B05
	s_add_u32 s16, s60, s16                                    // 000000003124: 8010103C
	s_addc_u32 s17, 0, s17                                     // 000000003128: 82111180
	s_mov_b32 s57, 0x100                                       // 00000000312C: BEB900FF 00000100
	s_mov_b32 s58, 0x1000                                      // 000000003134: BEBA00FF 00001000
	s_mov_b32 s79, 0x400                                       // 00000000313C: BECF00FF 00000400
	s_mov_b32 s59, 0x200                                       // 000000003144: BEBB00FF 00000200
	s_mov_b32 s90, s58                                         // 00000000314C: BEDA003A
	s_mov_b32 s52, 0x7060302                                   // 000000003150: BEB400FF 07060302
	s_mov_b32 s53, 0x400                                       // 000000003158: BEB500FF 00000400
	s_mov_b32 s54, 0x40100                                     // 000000003160: BEB600FF 00040100
	s_mov_b32 s55, 0x4020100                                   // 000000003168: BEB700FF 04020100
	s_mov_b32 s6, 0x3fb8aa3b                                   // 000000003170: BE8600FF 3FB8AA3B
	s_mov_b32 s77, 0xbd92220c                                  // 000000003178: BECD00FF BD92220C
	s_mov_b32 m0, s50                                          // 000000003180: BEFC0032
	v_mov_b32_e32 v1, 0xbfcc4231                               // 000000003184: 7E0202FF BFCC4231
	v_mov_b32_e32 v45, 0xffff0000                              // 00000000318C: 7E5A02FF FFFF0000
	v_mov_b32_e32 v46, 0x7fff0000                              // 000000003194: 7E5C02FF 7FFF0000
	v_mov_b32_e32 v47, 0x7fff                                  // 00000000319C: 7E5E02FF 00007FFF
	s_waitcnt vmcnt(0) expcnt(0) lgkmcnt(0)                    // 0000000031A4: BF8C0000
	v_lshrrev_b32_e32 v50, 24, v6                              // 0000000031A8: 20640C98
	v_mul_i32_i24_e32 v50, s66, v50                            // 0000000031AC: 0C646442
	v_and_b32_e32 v51, 0xffffff, v6                            // 0000000031B0: 26660CFF 00FFFFFF
	v_add_u32_e32 v6, v50, v51                                 // 0000000031B8: 680C6732
	v_lshrrev_b32_e32 v50, 24, v7                              // 0000000031BC: 20640E98
	v_mul_i32_i24_e32 v50, s66, v50                            // 0000000031C0: 0C646442
	v_and_b32_e32 v51, 0xffffff, v7                            // 0000000031C4: 26660EFF 00FFFFFF
	v_add_u32_e32 v7, v50, v51                                 // 0000000031CC: 680E6732
	v_lshlrev_b32_e32 v6, 2, v6                                // 0000000031D0: 240C0C82
	v_lshlrev_b32_e32 v7, 2, v7                                // 0000000031D4: 240E0E82
	buffer_load_dword v14, v6, s[28:31], 0 offen               // 0000000031D8: E0501000 80070E06
	buffer_load_dword v15, v7, s[28:31], 0 offen               // 0000000031E0: E0501000 80070F07
	buffer_load_dword v16, v10, s[32:35], 0 offen              // 0000000031E8: E0501000 8008100A
	buffer_load_dword v17, v11, s[32:35], 0 offen              // 0000000031F0: E0501000 8008110B
	s_mul_i32 s60, 4, s65                                      // 0000000031F8: 923C4184
	s_add_u32 s32, s60, s32                                    // 0000000031FC: 8020203C
	s_addc_u32 s33, 0, s33                                     // 000000003200: 82212180
	buffer_load_dword v48, v10, s[32:35], 0 offen              // 000000003204: E0501000 8008300A
	buffer_load_dword v49, v11, s[32:35], 0 offen              // 00000000320C: E0501000 8008310B
	buffer_load_dword v18, v10, s[36:39], 0 offen              // 000000003214: E0501000 8009120A
	buffer_load_dword v19, v11, s[36:39], 0 offen              // 00000000321C: E0501000 8009130B
	buffer_load_dword v20, v8, s[40:43], 0 offen               // 000000003224: E0501000 800A1408
	buffer_load_dword v21, v9, s[40:43], 0 offen               // 00000000322C: E0501000 800A1509
	buffer_load_dword v26, s[20:23], 0 offen lds               // 000000003234: E0511000 8005001A
	s_add_u32 m0, 0x100, s50                                   // 00000000323C: 807C32FF 00000100
	buffer_load_dword v27, s[20:23], 0 offen lds               // 000000003244: E0511000 8005001B
	s_add_u32 m0, 0x200, s50                                   // 00000000324C: 807C32FF 00000200
	buffer_load_dword v28, s[20:23], 0 offen lds               // 000000003254: E0511000 8005001C
	s_add_u32 m0, 0x300, s50                                   // 00000000325C: 807C32FF 00000300
	buffer_load_dword v29, s[20:23], 0 offen lds               // 000000003264: E0511000 8005001D
	s_add_u32 m0, 0x400, s50                                   // 00000000326C: 807C32FF 00000400
	buffer_load_dword v30, s[20:23], 0 offen lds               // 000000003274: E0511000 8005001E
	s_add_u32 m0, 0x500, s50                                   // 00000000327C: 807C32FF 00000500
	buffer_load_dword v31, s[20:23], 0 offen lds               // 000000003284: E0511000 8005001F
	s_add_u32 m0, 0x600, s50                                   // 00000000328C: 807C32FF 00000600
	buffer_load_dword v32, s[20:23], 0 offen lds               // 000000003294: E0511000 80050020
	s_add_u32 m0, 0x700, s50                                   // 00000000329C: 807C32FF 00000700
	buffer_load_dword v33, s[20:23], 0 offen lds               // 0000000032A4: E0511000 80050021
	s_add_u32 m0, 0, s51                                       // 0000000032AC: 807C3380
	s_add_u32 s20, s57, s20                                    // 0000000032B0: 80141439
	s_addc_u32 s21, 0, s21                                     // 0000000032B4: 82151580
	buffer_load_dwordx4 a[0:3], v34, s[24:27], 0 offen         // 0000000032B8: E05C1000 80860022
	buffer_load_dwordx4 a[4:7], v34, s[24:27], 0 offen offset:1024// 0000000032C0: E05C1400 80860422
	buffer_load_dwordx4 a[8:11], v34, s[24:27], 0 offen offset:2048// 0000000032C8: E05C1800 80860822
	buffer_load_dwordx4 a[12:15], v34, s[24:27], 0 offen offset:3072// 0000000032D0: E05C1C00 80860C22
	buffer_load_dwordx4 a[16:19], v35, s[24:27], 0 offen       // 0000000032D8: E05C1000 80861023
	buffer_load_dwordx4 a[20:23], v35, s[24:27], 0 offen offset:1024// 0000000032E0: E05C1400 80861423
	buffer_load_dwordx4 a[24:27], v35, s[24:27], 0 offen offset:2048// 0000000032E8: E05C1800 80861823
	buffer_load_dwordx4 a[28:31], v35, s[24:27], 0 offen offset:3072// 0000000032F0: E05C1C00 80861C23
	buffer_load_dwordx4 a[32:35], v36, s[24:27], 0 offen       // 0000000032F8: E05C1000 80862024
	buffer_load_dwordx4 a[36:39], v36, s[24:27], 0 offen offset:1024// 000000003300: E05C1400 80862424
	buffer_load_dwordx4 a[40:43], v36, s[24:27], 0 offen offset:2048// 000000003308: E05C1800 80862824
	buffer_load_dwordx4 a[44:47], v36, s[24:27], 0 offen offset:3072// 000000003310: E05C1C00 80862C24
	buffer_load_dwordx4 a[48:51], v37, s[24:27], 0 offen       // 000000003318: E05C1000 80863025
	buffer_load_dwordx4 a[52:55], v37, s[24:27], 0 offen offset:1024// 000000003320: E05C1400 80863425
	buffer_load_dwordx4 a[56:59], v37, s[24:27], 0 offen offset:2048// 000000003328: E05C1800 80863825
	buffer_load_dwordx4 a[60:63], v37, s[24:27], 0 offen offset:3072// 000000003330: E05C1C00 80863C25
	buffer_load_dwordx4 a[64:67], v38, s[24:27], 0 offen       // 000000003338: E05C1000 80864026
	buffer_load_dwordx4 a[68:71], v38, s[24:27], 0 offen offset:1024// 000000003340: E05C1400 80864426
	buffer_load_dwordx4 a[72:75], v38, s[24:27], 0 offen offset:2048// 000000003348: E05C1800 80864826
	buffer_load_dwordx4 a[76:79], v38, s[24:27], 0 offen offset:3072// 000000003350: E05C1C00 80864C26
	buffer_load_dwordx4 a[80:83], v39, s[24:27], 0 offen       // 000000003358: E05C1000 80865027
	buffer_load_dwordx4 a[84:87], v39, s[24:27], 0 offen offset:1024// 000000003360: E05C1400 80865427
	buffer_load_dwordx4 a[88:91], v39, s[24:27], 0 offen offset:2048// 000000003368: E05C1800 80865827
	buffer_load_dwordx4 a[92:95], v39, s[24:27], 0 offen offset:3072// 000000003370: E05C1C00 80865C27
	s_add_u32 s24, s58, s24                                    // 000000003378: 8018183A
	s_addc_u32 s25, 0, s25                                     // 00000000337C: 82191980
	v_mov_b32_e32 v128, 0                                      // 000000003380: 7F000280
	v_mov_b32_e32 v64, 0                                       // 000000003384: 7E800280
	v_mov_b32_e32 v129, 0                                      // 000000003388: 7F020280
	v_mov_b32_e32 v65, 0                                       // 00000000338C: 7E820280
	v_mov_b32_e32 v130, 0                                      // 000000003390: 7F040280
	v_mov_b32_e32 v66, 0                                       // 000000003394: 7E840280
	v_mov_b32_e32 v131, 0                                      // 000000003398: 7F060280
	v_mov_b32_e32 v67, 0                                       // 00000000339C: 7E860280
	v_mov_b32_e32 v132, 0                                      // 0000000033A0: 7F080280
	v_mov_b32_e32 v68, 0                                       // 0000000033A4: 7E880280
	v_mov_b32_e32 v133, 0                                      // 0000000033A8: 7F0A0280
	v_mov_b32_e32 v69, 0                                       // 0000000033AC: 7E8A0280
	v_mov_b32_e32 v134, 0                                      // 0000000033B0: 7F0C0280
	v_mov_b32_e32 v70, 0                                       // 0000000033B4: 7E8C0280
	v_mov_b32_e32 v135, 0                                      // 0000000033B8: 7F0E0280
	v_mov_b32_e32 v71, 0                                       // 0000000033BC: 7E8E0280
	v_mov_b32_e32 v136, 0                                      // 0000000033C0: 7F100280
	v_mov_b32_e32 v72, 0                                       // 0000000033C4: 7E900280
	v_mov_b32_e32 v137, 0                                      // 0000000033C8: 7F120280
	v_mov_b32_e32 v73, 0                                       // 0000000033CC: 7E920280
	v_mov_b32_e32 v138, 0                                      // 0000000033D0: 7F140280
	v_mov_b32_e32 v74, 0                                       // 0000000033D4: 7E940280
	v_mov_b32_e32 v139, 0                                      // 0000000033D8: 7F160280
	v_mov_b32_e32 v75, 0                                       // 0000000033DC: 7E960280
	v_mov_b32_e32 v140, 0                                      // 0000000033E0: 7F180280
	v_mov_b32_e32 v76, 0                                       // 0000000033E4: 7E980280
	v_mov_b32_e32 v141, 0                                      // 0000000033E8: 7F1A0280
	v_mov_b32_e32 v77, 0                                       // 0000000033EC: 7E9A0280
	v_mov_b32_e32 v142, 0                                      // 0000000033F0: 7F1C0280
	v_mov_b32_e32 v78, 0                                       // 0000000033F4: 7E9C0280
	v_mov_b32_e32 v143, 0                                      // 0000000033F8: 7F1E0280
	v_mov_b32_e32 v79, 0                                       // 0000000033FC: 7E9E0280
	v_mov_b32_e32 v144, 0                                      // 000000003400: 7F200280
	v_mov_b32_e32 v80, 0                                       // 000000003404: 7EA00280
	v_mov_b32_e32 v145, 0                                      // 000000003408: 7F220280
	v_mov_b32_e32 v81, 0                                       // 00000000340C: 7EA20280
	v_mov_b32_e32 v146, 0                                      // 000000003410: 7F240280
	v_mov_b32_e32 v82, 0                                       // 000000003414: 7EA40280
	v_mov_b32_e32 v147, 0                                      // 000000003418: 7F260280
	v_mov_b32_e32 v83, 0                                       // 00000000341C: 7EA60280
	v_mov_b32_e32 v148, 0                                      // 000000003420: 7F280280
	v_mov_b32_e32 v84, 0                                       // 000000003424: 7EA80280
	v_mov_b32_e32 v149, 0                                      // 000000003428: 7F2A0280
	v_mov_b32_e32 v85, 0                                       // 00000000342C: 7EAA0280
	v_mov_b32_e32 v150, 0                                      // 000000003430: 7F2C0280
	v_mov_b32_e32 v86, 0                                       // 000000003434: 7EAC0280
	v_mov_b32_e32 v151, 0                                      // 000000003438: 7F2E0280
	v_mov_b32_e32 v87, 0                                       // 00000000343C: 7EAE0280
	v_mov_b32_e32 v152, 0                                      // 000000003440: 7F300280
	v_mov_b32_e32 v88, 0                                       // 000000003444: 7EB00280
	v_mov_b32_e32 v153, 0                                      // 000000003448: 7F320280
	v_mov_b32_e32 v89, 0                                       // 00000000344C: 7EB20280
	v_mov_b32_e32 v154, 0                                      // 000000003450: 7F340280
	v_mov_b32_e32 v90, 0                                       // 000000003454: 7EB40280
	v_mov_b32_e32 v155, 0                                      // 000000003458: 7F360280
	v_mov_b32_e32 v91, 0                                       // 00000000345C: 7EB60280
	v_mov_b32_e32 v156, 0                                      // 000000003460: 7F380280
	v_mov_b32_e32 v92, 0                                       // 000000003464: 7EB80280
	v_mov_b32_e32 v157, 0                                      // 000000003468: 7F3A0280
	v_mov_b32_e32 v93, 0                                       // 00000000346C: 7EBA0280
	v_mov_b32_e32 v158, 0                                      // 000000003470: 7F3C0280
	v_mov_b32_e32 v94, 0                                       // 000000003474: 7EBC0280
	v_mov_b32_e32 v159, 0                                      // 000000003478: 7F3E0280
	v_mov_b32_e32 v95, 0                                       // 00000000347C: 7EBE0280
	v_mov_b32_e32 v160, 0                                      // 000000003480: 7F400280
	v_mov_b32_e32 v96, 0                                       // 000000003484: 7EC00280
	v_mov_b32_e32 v161, 0                                      // 000000003488: 7F420280
	v_mov_b32_e32 v97, 0                                       // 00000000348C: 7EC20280
	v_mov_b32_e32 v162, 0                                      // 000000003490: 7F440280
	v_mov_b32_e32 v98, 0                                       // 000000003494: 7EC40280
	v_mov_b32_e32 v163, 0                                      // 000000003498: 7F460280
	v_mov_b32_e32 v99, 0                                       // 00000000349C: 7EC60280
	v_mov_b32_e32 v164, 0                                      // 0000000034A0: 7F480280
	v_mov_b32_e32 v100, 0                                      // 0000000034A4: 7EC80280
	v_mov_b32_e32 v165, 0                                      // 0000000034A8: 7F4A0280
	v_mov_b32_e32 v101, 0                                      // 0000000034AC: 7ECA0280
	v_mov_b32_e32 v166, 0                                      // 0000000034B0: 7F4C0280
	v_mov_b32_e32 v102, 0                                      // 0000000034B4: 7ECC0280
	v_mov_b32_e32 v167, 0                                      // 0000000034B8: 7F4E0280
	v_mov_b32_e32 v103, 0                                      // 0000000034BC: 7ECE0280
	v_mov_b32_e32 v168, 0                                      // 0000000034C0: 7F500280
	v_mov_b32_e32 v104, 0                                      // 0000000034C4: 7ED00280
	v_mov_b32_e32 v169, 0                                      // 0000000034C8: 7F520280
	v_mov_b32_e32 v105, 0                                      // 0000000034CC: 7ED20280
	v_mov_b32_e32 v170, 0                                      // 0000000034D0: 7F540280
	v_mov_b32_e32 v106, 0                                      // 0000000034D4: 7ED40280
	v_mov_b32_e32 v171, 0                                      // 0000000034D8: 7F560280
	v_mov_b32_e32 v107, 0                                      // 0000000034DC: 7ED60280
	v_mov_b32_e32 v172, 0                                      // 0000000034E0: 7F580280
	v_mov_b32_e32 v108, 0                                      // 0000000034E4: 7ED80280
	v_mov_b32_e32 v173, 0                                      // 0000000034E8: 7F5A0280
	v_mov_b32_e32 v109, 0                                      // 0000000034EC: 7EDA0280
	v_mov_b32_e32 v174, 0                                      // 0000000034F0: 7F5C0280
	v_mov_b32_e32 v110, 0                                      // 0000000034F4: 7EDC0280
	v_mov_b32_e32 v175, 0                                      // 0000000034F8: 7F5E0280
	v_mov_b32_e32 v111, 0                                      // 0000000034FC: 7EDE0280
	v_lshrrev_b32_e32 v50, 4, v0                               // 000000003500: 20640084
	v_mul_i32_i24_e32 v3, 34, v50                              // 000000003504: 0C0664A2
	v_and_b32_e32 v50, 15, v0                                  // 000000003508: 2664008F
	v_mul_i32_i24_e32 v51, 2, v50                              // 00000000350C: 0C666482
	v_add_u32_e32 v3, v51, v3                                  // 000000003510: 68060733
	s_mul_i32 s60, s7, 0x88                                    // 000000003514: 923CFF07 00000088
	v_add_u32_e32 v3, s60, v3                                  // 00000000351C: 6806063C
	v_lshlrev_b32_e32 v3, 2, v3                                // 000000003520: 24060682
	v_lshrrev_b32_e32 v50, 1, v0                               // 000000003524: 20640081
	v_mul_i32_i24_e32 v4, 34, v50                              // 000000003528: 0C0864A2
	v_and_b32_e32 v51, 1, v0                                   // 00000000352C: 26660081
	v_add_u32_e32 v4, v51, v4                                  // 000000003530: 68080933
	s_mul_i32 s60, s7, 2                                       // 000000003534: 923C8207
	v_add_u32_e32 v4, s60, v4                                  // 000000003538: 6808083C
	v_lshlrev_b32_e32 v4, 2, v4                                // 00000000353C: 24080882
	s_waitcnt vmcnt(24)                                        // 000000003540: BF8C4F78
	s_barrier                                                  // 000000003544: BF8A0000
	ds_read_b128 v[176:179], v2                                // 000000003548: D9FE0000 B0000002
	ds_read_b128 v[180:183], v2 offset:64                      // 000000003550: D9FE0040 B4000002
	ds_read_b128 v[184:187], v2 offset:128                     // 000000003558: D9FE0080 B8000002
	ds_read_b128 v[188:191], v2 offset:192                     // 000000003560: D9FE00C0 BC000002
	ds_read_b128 v[192:195], v2 offset:1024                    // 000000003568: D9FE0400 C0000002
	ds_read_b128 v[196:199], v2 offset:1088                    // 000000003570: D9FE0440 C4000002
	ds_read_b128 v[200:203], v2 offset:1152                    // 000000003578: D9FE0480 C8000002
	ds_read_b128 v[204:207], v2 offset:1216                    // 000000003580: D9FE04C0 CC000002
	s_cmp_lt_i32 s7, 2                                         // 000000003588: BF048207
	s_cbranch_scc0 label_118B                                  // 00000000358C: BF840EE7

0000000000003590 <label_02A4>:
	s_waitcnt vmcnt(16) lgkmcnt(0)                             // 000000003590: BF8C4070
	s_barrier                                                  // 000000003594: BF8A0000
	v_mfma_f32_16x16x32_fp8_fp8 v[128:131], a[0:1], v[176:177], v[128:131]// 000000003598: D3F30080 0E036100
	v_mfma_f32_16x16x32_fp8_fp8 v[128:131], a[2:3], v[178:179], v[128:131]// 0000000035A0: D3F30080 0E036502
	buffer_load_dwordx4 a[96:99], v34, s[92:95], 0 offen       // 0000000035A8: E05C1000 80976022
	v_mfma_f32_16x16x32_fp8_fp8 v[128:131], a[4:5], v[180:181], v[128:131]// 0000000035B0: D3F30080 0E036904
	v_mfma_f32_16x16x32_fp8_fp8 v[128:131], a[6:7], v[182:183], v[128:131]// 0000000035B8: D3F30080 0E036D06
	buffer_load_dword v26, s[20:23], 0 offen lds               // 0000000035C0: E0511000 8005001A
	s_add_u32 m0, 0x100, s51                                   // 0000000035C8: 807C33FF 00000100
	v_mfma_f32_16x16x32_fp8_fp8 v[128:131], a[8:9], v[184:185], v[128:131]// 0000000035D0: D3F30080 0E037108
	v_mfma_f32_16x16x32_fp8_fp8 v[128:131], a[10:11], v[186:187], v[128:131]// 0000000035D8: D3F30080 0E03750A
	buffer_load_dwordx4 a[100:103], v34, s[92:95], 0 offen offset:1024// 0000000035E0: E05C1400 80976422
	v_mfma_f32_16x16x32_fp8_fp8 v[128:131], a[12:13], v[188:189], v[128:131]// 0000000035E8: D3F30080 0E03790C
	v_mfma_f32_16x16x32_fp8_fp8 v[128:131], a[14:15], v[190:191], v[128:131]// 0000000035F0: D3F30080 0E037D0E
	buffer_load_dword v27, s[20:23], 0 offen lds               // 0000000035F8: E0511000 8005001B
	s_add_u32 m0, 0x200, s51                                   // 000000003600: 807C33FF 00000200
	v_mfma_f32_16x16x32_fp8_fp8 v[132:135], a[0:1], v[192:193], v[132:135]// 000000003608: D3F30084 0E138100
	v_mfma_f32_16x16x32_fp8_fp8 v[132:135], a[2:3], v[194:195], v[132:135]// 000000003610: D3F30084 0E138502
	buffer_load_dwordx4 a[104:107], v34, s[92:95], 0 offen offset:2048// 000000003618: E05C1800 80976822
	v_mfma_f32_16x16x32_fp8_fp8 v[132:135], a[4:5], v[196:197], v[132:135]// 000000003620: D3F30084 0E138904
	v_mfma_f32_16x16x32_fp8_fp8 v[132:135], a[6:7], v[198:199], v[132:135]// 000000003628: D3F30084 0E138D06
	buffer_load_dword v28, s[20:23], 0 offen lds               // 000000003630: E0511000 8005001C
	s_add_u32 m0, 0x300, s51                                   // 000000003638: 807C33FF 00000300
	v_mfma_f32_16x16x32_fp8_fp8 v[132:135], a[8:9], v[200:201], v[132:135]// 000000003640: D3F30084 0E139108
	v_mfma_f32_16x16x32_fp8_fp8 v[132:135], a[10:11], v[202:203], v[132:135]// 000000003648: D3F30084 0E13950A
	buffer_load_dwordx4 a[108:111], v34, s[92:95], 0 offen offset:3072// 000000003650: E05C1C00 80976C22
	v_mfma_f32_16x16x32_fp8_fp8 v[132:135], a[12:13], v[204:205], v[132:135]// 000000003658: D3F30084 0E13990C
	v_mfma_f32_16x16x32_fp8_fp8 v[132:135], a[14:15], v[206:207], v[132:135]// 000000003660: D3F30084 0E139D0E
	buffer_load_dword v29, s[20:23], 0 offen lds               // 000000003668: E0511000 8005001D
	s_add_u32 m0, 0x400, s51                                   // 000000003670: 807C33FF 00000400
	v_mfma_f32_16x16x32_fp8_fp8 v[136:139], a[16:17], v[176:177], v[136:139]// 000000003678: D3F30088 0E236110
	v_mfma_f32_16x16x32_fp8_fp8 v[136:139], a[18:19], v[178:179], v[136:139]// 000000003680: D3F30088 0E236512
	buffer_load_dwordx4 a[112:115], v35, s[92:95], 0 offen     // 000000003688: E05C1000 80977023
	v_mfma_f32_16x16x32_fp8_fp8 v[136:139], a[20:21], v[180:181], v[136:139]// 000000003690: D3F30088 0E236914
	v_mfma_f32_16x16x32_fp8_fp8 v[136:139], a[22:23], v[182:183], v[136:139]// 000000003698: D3F30088 0E236D16
	buffer_load_dword v30, s[20:23], 0 offen lds               // 0000000036A0: E0511000 8005001E
	s_add_u32 m0, 0x500, s51                                   // 0000000036A8: 807C33FF 00000500
	v_mfma_f32_16x16x32_fp8_fp8 v[136:139], a[24:25], v[184:185], v[136:139]// 0000000036B0: D3F30088 0E237118
	v_mfma_f32_16x16x32_fp8_fp8 v[136:139], a[26:27], v[186:187], v[136:139]// 0000000036B8: D3F30088 0E23751A
	buffer_load_dwordx4 a[116:119], v35, s[92:95], 0 offen offset:1024// 0000000036C0: E05C1400 80977423
	v_mfma_f32_16x16x32_fp8_fp8 v[136:139], a[28:29], v[188:189], v[136:139]// 0000000036C8: D3F30088 0E23791C
	v_mfma_f32_16x16x32_fp8_fp8 v[136:139], a[30:31], v[190:191], v[136:139]// 0000000036D0: D3F30088 0E237D1E
	buffer_load_dword v31, s[20:23], 0 offen lds               // 0000000036D8: E0511000 8005001F
	s_add_u32 m0, 0x600, s51                                   // 0000000036E0: 807C33FF 00000600
	v_mfma_f32_16x16x32_fp8_fp8 v[140:143], a[16:17], v[192:193], v[140:143]// 0000000036E8: D3F3008C 0E338110
	v_mfma_f32_16x16x32_fp8_fp8 v[140:143], a[18:19], v[194:195], v[140:143]// 0000000036F0: D3F3008C 0E338512
	buffer_load_dwordx4 a[120:123], v35, s[92:95], 0 offen offset:2048// 0000000036F8: E05C1800 80977823
	v_mfma_f32_16x16x32_fp8_fp8 v[140:143], a[20:21], v[196:197], v[140:143]// 000000003700: D3F3008C 0E338914
	v_mfma_f32_16x16x32_fp8_fp8 v[140:143], a[22:23], v[198:199], v[140:143]// 000000003708: D3F3008C 0E338D16
	buffer_load_dword v32, s[20:23], 0 offen lds               // 000000003710: E0511000 80050020
	s_add_u32 m0, 0x700, s51                                   // 000000003718: 807C33FF 00000700
	v_mfma_f32_16x16x32_fp8_fp8 v[140:143], a[24:25], v[200:201], v[140:143]// 000000003720: D3F3008C 0E339118
	v_mfma_f32_16x16x32_fp8_fp8 v[140:143], a[26:27], v[202:203], v[140:143]// 000000003728: D3F3008C 0E33951A
	buffer_load_dwordx4 a[124:127], v35, s[92:95], 0 offen offset:3072// 000000003730: E05C1C00 80977C23
	v_mfma_f32_16x16x32_fp8_fp8 v[140:143], a[28:29], v[204:205], v[140:143]// 000000003738: D3F3008C 0E33991C
	v_mfma_f32_16x16x32_fp8_fp8 v[140:143], a[30:31], v[206:207], v[140:143]// 000000003740: D3F3008C 0E339D1E
	buffer_load_dword v33, s[20:23], 0 offen lds               // 000000003748: E0511000 80050021
	s_add_u32 m0, 0, s50                                       // 000000003750: 807C3280
	s_waitcnt vmcnt(28)                                        // 000000003754: BF8C4F7C
	v_mfma_f32_16x16x32_fp8_fp8 v[144:147], a[32:33], v[176:177], v[144:147]// 000000003758: D3F30090 0E436120
	v_mfma_f32_16x16x32_fp8_fp8 v[144:147], a[34:35], v[178:179], v[144:147]// 000000003760: D3F30090 0E436522
	buffer_load_dwordx4 a[128:131], v36, s[92:95], 0 offen     // 000000003768: E05C1000 80978024
	v_mfma_f32_16x16x32_fp8_fp8 v[144:147], a[36:37], v[180:181], v[144:147]// 000000003770: D3F30090 0E436924
	v_mfma_f32_16x16x32_fp8_fp8 v[144:147], a[38:39], v[182:183], v[144:147]// 000000003778: D3F30090 0E436D26
	v_mfma_f32_16x16x32_fp8_fp8 v[144:147], a[40:41], v[184:185], v[144:147]// 000000003780: D3F30090 0E437128
	v_mfma_f32_16x16x32_fp8_fp8 v[144:147], a[42:43], v[186:187], v[144:147]// 000000003788: D3F30090 0E43752A
	buffer_load_dwordx4 a[132:135], v36, s[92:95], 0 offen offset:1024// 000000003790: E05C1400 80978424
	v_mfma_f32_16x16x32_fp8_fp8 v[144:147], a[44:45], v[188:189], v[144:147]// 000000003798: D3F30090 0E43792C
	v_mfma_f32_16x16x32_fp8_fp8 v[144:147], a[46:47], v[190:191], v[144:147]// 0000000037A0: D3F30090 0E437D2E
	v_mfma_f32_16x16x32_fp8_fp8 v[148:151], a[32:33], v[192:193], v[148:151]// 0000000037A8: D3F30094 0E538120
	v_mfma_f32_16x16x32_fp8_fp8 v[148:151], a[34:35], v[194:195], v[148:151]// 0000000037B0: D3F30094 0E538522
	buffer_load_dwordx4 a[136:139], v36, s[92:95], 0 offen offset:2048// 0000000037B8: E05C1800 80978824
	v_mfma_f32_16x16x32_fp8_fp8 v[148:151], a[36:37], v[196:197], v[148:151]// 0000000037C0: D3F30094 0E538924
	v_mfma_f32_16x16x32_fp8_fp8 v[148:151], a[38:39], v[198:199], v[148:151]// 0000000037C8: D3F30094 0E538D26
	v_mfma_f32_16x16x32_fp8_fp8 v[148:151], a[40:41], v[200:201], v[148:151]// 0000000037D0: D3F30094 0E539128
	v_mfma_f32_16x16x32_fp8_fp8 v[148:151], a[42:43], v[202:203], v[148:151]// 0000000037D8: D3F30094 0E53952A
	buffer_load_dwordx4 a[140:143], v36, s[92:95], 0 offen offset:3072// 0000000037E0: E05C1C00 80978C24
	v_mfma_f32_16x16x32_fp8_fp8 v[148:151], a[44:45], v[204:205], v[148:151]// 0000000037E8: D3F30094 0E53992C
	v_mfma_f32_16x16x32_fp8_fp8 v[148:151], a[46:47], v[206:207], v[148:151]// 0000000037F0: D3F30094 0E539D2E
	s_waitcnt vmcnt(28)                                        // 0000000037F8: BF8C4F7C
	v_mfma_f32_16x16x32_fp8_fp8 v[152:155], a[48:49], v[176:177], v[152:155]// 0000000037FC: D3F30098 0E636130
	v_mfma_f32_16x16x32_fp8_fp8 v[152:155], a[50:51], v[178:179], v[152:155]// 000000003804: D3F30098 0E636532
	buffer_load_dwordx4 a[144:147], v37, s[92:95], 0 offen     // 00000000380C: E05C1000 80979025
	v_mfma_f32_16x16x32_fp8_fp8 v[152:155], a[52:53], v[180:181], v[152:155]// 000000003814: D3F30098 0E636934
	v_mfma_f32_16x16x32_fp8_fp8 v[152:155], a[54:55], v[182:183], v[152:155]// 00000000381C: D3F30098 0E636D36
	v_mfma_f32_16x16x32_fp8_fp8 v[152:155], a[56:57], v[184:185], v[152:155]// 000000003824: D3F30098 0E637138
	v_mfma_f32_16x16x32_fp8_fp8 v[152:155], a[58:59], v[186:187], v[152:155]// 00000000382C: D3F30098 0E63753A
	buffer_load_dwordx4 a[148:151], v37, s[92:95], 0 offen offset:1024// 000000003834: E05C1400 80979425
	v_mfma_f32_16x16x32_fp8_fp8 v[152:155], a[60:61], v[188:189], v[152:155]// 00000000383C: D3F30098 0E63793C
	v_mfma_f32_16x16x32_fp8_fp8 v[152:155], a[62:63], v[190:191], v[152:155]// 000000003844: D3F30098 0E637D3E
	v_mfma_f32_16x16x32_fp8_fp8 v[156:159], a[48:49], v[192:193], v[156:159]// 00000000384C: D3F3009C 0E738130
	v_mfma_f32_16x16x32_fp8_fp8 v[156:159], a[50:51], v[194:195], v[156:159]// 000000003854: D3F3009C 0E738532
	buffer_load_dwordx4 a[152:155], v37, s[92:95], 0 offen offset:2048// 00000000385C: E05C1800 80979825
	v_mfma_f32_16x16x32_fp8_fp8 v[156:159], a[52:53], v[196:197], v[156:159]// 000000003864: D3F3009C 0E738934
	v_mfma_f32_16x16x32_fp8_fp8 v[156:159], a[54:55], v[198:199], v[156:159]// 00000000386C: D3F3009C 0E738D36
	v_mfma_f32_16x16x32_fp8_fp8 v[156:159], a[56:57], v[200:201], v[156:159]// 000000003874: D3F3009C 0E739138
	v_mfma_f32_16x16x32_fp8_fp8 v[156:159], a[58:59], v[202:203], v[156:159]// 00000000387C: D3F3009C 0E73953A
	buffer_load_dwordx4 a[156:159], v37, s[92:95], 0 offen offset:3072// 000000003884: E05C1C00 80979C25
	v_mfma_f32_16x16x32_fp8_fp8 v[156:159], a[60:61], v[204:205], v[156:159]// 00000000388C: D3F3009C 0E73993C
	v_mfma_f32_16x16x32_fp8_fp8 v[156:159], a[62:63], v[206:207], v[156:159]// 000000003894: D3F3009C 0E739D3E
	s_waitcnt vmcnt(28)                                        // 00000000389C: BF8C4F7C
	v_mfma_f32_16x16x32_fp8_fp8 v[160:163], a[64:65], v[176:177], v[160:163]// 0000000038A0: D3F300A0 0E836140
	v_mfma_f32_16x16x32_fp8_fp8 v[160:163], a[66:67], v[178:179], v[160:163]// 0000000038A8: D3F300A0 0E836542
	buffer_load_dwordx4 a[160:163], v38, s[92:95], 0 offen     // 0000000038B0: E05C1000 8097A026
	v_mfma_f32_16x16x32_fp8_fp8 v[160:163], a[68:69], v[180:181], v[160:163]// 0000000038B8: D3F300A0 0E836944
	v_mfma_f32_16x16x32_fp8_fp8 v[160:163], a[70:71], v[182:183], v[160:163]// 0000000038C0: D3F300A0 0E836D46
	v_mfma_f32_16x16x32_fp8_fp8 v[160:163], a[72:73], v[184:185], v[160:163]// 0000000038C8: D3F300A0 0E837148
	v_mfma_f32_16x16x32_fp8_fp8 v[160:163], a[74:75], v[186:187], v[160:163]// 0000000038D0: D3F300A0 0E83754A
	buffer_load_dwordx4 a[164:167], v38, s[92:95], 0 offen offset:1024// 0000000038D8: E05C1400 8097A426
	v_mfma_f32_16x16x32_fp8_fp8 v[160:163], a[76:77], v[188:189], v[160:163]// 0000000038E0: D3F300A0 0E83794C
	v_mfma_f32_16x16x32_fp8_fp8 v[160:163], a[78:79], v[190:191], v[160:163]// 0000000038E8: D3F300A0 0E837D4E
	v_mfma_f32_16x16x32_fp8_fp8 v[164:167], a[64:65], v[192:193], v[164:167]// 0000000038F0: D3F300A4 0E938140
	v_mfma_f32_16x16x32_fp8_fp8 v[164:167], a[66:67], v[194:195], v[164:167]// 0000000038F8: D3F300A4 0E938542
	buffer_load_dwordx4 a[168:171], v38, s[92:95], 0 offen offset:2048// 000000003900: E05C1800 8097A826
	v_mfma_f32_16x16x32_fp8_fp8 v[164:167], a[68:69], v[196:197], v[164:167]// 000000003908: D3F300A4 0E938944
	v_mfma_f32_16x16x32_fp8_fp8 v[164:167], a[70:71], v[198:199], v[164:167]// 000000003910: D3F300A4 0E938D46
	v_mfma_f32_16x16x32_fp8_fp8 v[164:167], a[72:73], v[200:201], v[164:167]// 000000003918: D3F300A4 0E939148
	v_mfma_f32_16x16x32_fp8_fp8 v[164:167], a[74:75], v[202:203], v[164:167]// 000000003920: D3F300A4 0E93954A
	buffer_load_dwordx4 a[172:175], v38, s[92:95], 0 offen offset:3072// 000000003928: E05C1C00 8097AC26
	v_mfma_f32_16x16x32_fp8_fp8 v[164:167], a[76:77], v[204:205], v[164:167]// 000000003930: D3F300A4 0E93994C
	v_mfma_f32_16x16x32_fp8_fp8 v[164:167], a[78:79], v[206:207], v[164:167]// 000000003938: D3F300A4 0E939D4E
	s_waitcnt vmcnt(28)                                        // 000000003940: BF8C4F7C
	v_mfma_f32_16x16x32_fp8_fp8 v[168:171], a[80:81], v[176:177], v[168:171]// 000000003944: D3F300A8 0EA36150
	v_mfma_f32_16x16x32_fp8_fp8 v[168:171], a[82:83], v[178:179], v[168:171]// 00000000394C: D3F300A8 0EA36552
	buffer_load_dwordx4 a[176:179], v39, s[92:95], 0 offen     // 000000003954: E05C1000 8097B027
	v_mfma_f32_16x16x32_fp8_fp8 v[168:171], a[84:85], v[180:181], v[168:171]// 00000000395C: D3F300A8 0EA36954
	v_mfma_f32_16x16x32_fp8_fp8 v[168:171], a[86:87], v[182:183], v[168:171]// 000000003964: D3F300A8 0EA36D56
	v_mfma_f32_16x16x32_fp8_fp8 v[168:171], a[88:89], v[184:185], v[168:171]// 00000000396C: D3F300A8 0EA37158
	v_mfma_f32_16x16x32_fp8_fp8 v[168:171], a[90:91], v[186:187], v[168:171]// 000000003974: D3F300A8 0EA3755A
	buffer_load_dwordx4 a[180:183], v39, s[92:95], 0 offen offset:1024// 00000000397C: E05C1400 8097B427
	v_mfma_f32_16x16x32_fp8_fp8 v[168:171], a[92:93], v[188:189], v[168:171]// 000000003984: D3F300A8 0EA3795C
	v_mfma_f32_16x16x32_fp8_fp8 v[168:171], a[94:95], v[190:191], v[168:171]// 00000000398C: D3F300A8 0EA37D5E
	v_mfma_f32_16x16x32_fp8_fp8 v[172:175], a[80:81], v[192:193], v[172:175]// 000000003994: D3F300AC 0EB38150
	v_mfma_f32_16x16x32_fp8_fp8 v[172:175], a[82:83], v[194:195], v[172:175]// 00000000399C: D3F300AC 0EB38552
	buffer_load_dwordx4 a[184:187], v39, s[92:95], 0 offen offset:2048// 0000000039A4: E05C1800 8097B827
	v_mfma_f32_16x16x32_fp8_fp8 v[172:175], a[84:85], v[196:197], v[172:175]// 0000000039AC: D3F300AC 0EB38954
	v_mfma_f32_16x16x32_fp8_fp8 v[172:175], a[86:87], v[198:199], v[172:175]// 0000000039B4: D3F300AC 0EB38D56
	v_mfma_f32_16x16x32_fp8_fp8 v[172:175], a[88:89], v[200:201], v[172:175]// 0000000039BC: D3F300AC 0EB39158
	v_mfma_f32_16x16x32_fp8_fp8 v[172:175], a[90:91], v[202:203], v[172:175]// 0000000039C4: D3F300AC 0EB3955A
	buffer_load_dwordx4 a[188:191], v39, s[92:95], 0 offen offset:3072// 0000000039CC: E05C1C00 8097BC27
	v_mfma_f32_16x16x32_fp8_fp8 v[172:175], a[92:93], v[204:205], v[172:175]// 0000000039D4: D3F300AC 0EB3995C
	v_mfma_f32_16x16x32_fp8_fp8 v[172:175], a[94:95], v[206:207], v[172:175]// 0000000039DC: D3F300AC 0EB39D5E
	s_waitcnt vmcnt(16)                                        // 0000000039E4: BF8C4F70
	s_barrier                                                  // 0000000039E8: BF8A0000
	v_mfma_f32_16x16x32_fp8_fp8 v[64:67], a[96:97], v[176:177], v[64:67]// 0000000039EC: D3F30040 0D036160
	v_mfma_f32_16x16x32_fp8_fp8 v[64:67], a[98:99], v[178:179], v[64:67]// 0000000039F4: D3F30040 0D036562
	buffer_load_dwordx4 a[0:3], v34, s[24:27], 0 offen         // 0000000039FC: E05C1000 80860022
	v_mfma_f32_16x16x32_fp8_fp8 v[64:67], a[100:101], v[180:181], v[64:67]// 000000003A04: D3F30040 0D036964
	v_mfma_f32_16x16x32_fp8_fp8 v[64:67], a[102:103], v[182:183], v[64:67]// 000000003A0C: D3F30040 0D036D66
	v_mfma_f32_16x16x32_fp8_fp8 v[64:67], a[104:105], v[184:185], v[64:67]// 000000003A14: D3F30040 0D037168
	v_mfma_f32_16x16x32_fp8_fp8 v[64:67], a[106:107], v[186:187], v[64:67]// 000000003A1C: D3F30040 0D03756A
	buffer_load_dwordx4 a[4:7], v34, s[24:27], 0 offen offset:1024// 000000003A24: E05C1400 80860422
	v_mfma_f32_16x16x32_fp8_fp8 v[64:67], a[108:109], v[188:189], v[64:67]// 000000003A2C: D3F30040 0D03796C
	v_mfma_f32_16x16x32_fp8_fp8 v[64:67], a[110:111], v[190:191], v[64:67]// 000000003A34: D3F30040 0D037D6E
	v_mfma_f32_16x16x32_fp8_fp8 v[68:71], a[96:97], v[192:193], v[68:71]// 000000003A3C: D3F30044 0D138160
	v_mfma_f32_16x16x32_fp8_fp8 v[68:71], a[98:99], v[194:195], v[68:71]// 000000003A44: D3F30044 0D138562
	buffer_load_dwordx4 a[8:11], v34, s[24:27], 0 offen offset:2048// 000000003A4C: E05C1800 80860822
	v_mfma_f32_16x16x32_fp8_fp8 v[68:71], a[100:101], v[196:197], v[68:71]// 000000003A54: D3F30044 0D138964
	v_mfma_f32_16x16x32_fp8_fp8 v[68:71], a[102:103], v[198:199], v[68:71]// 000000003A5C: D3F30044 0D138D66
	v_mfma_f32_16x16x32_fp8_fp8 v[68:71], a[104:105], v[200:201], v[68:71]// 000000003A64: D3F30044 0D139168
	v_mfma_f32_16x16x32_fp8_fp8 v[68:71], a[106:107], v[202:203], v[68:71]// 000000003A6C: D3F30044 0D13956A
	buffer_load_dwordx4 a[12:15], v34, s[24:27], 0 offen offset:3072// 000000003A74: E05C1C00 80860C22
	v_mfma_f32_16x16x32_fp8_fp8 v[68:71], a[108:109], v[204:205], v[68:71]// 000000003A7C: D3F30044 0D13996C
	v_mfma_f32_16x16x32_fp8_fp8 v[68:71], a[110:111], v[206:207], v[68:71]// 000000003A84: D3F30044 0D139D6E
	v_mfma_f32_16x16x32_fp8_fp8 v[72:75], a[112:113], v[176:177], v[72:75]// 000000003A8C: D3F30048 0D236170
	v_mfma_f32_16x16x32_fp8_fp8 v[72:75], a[114:115], v[178:179], v[72:75]// 000000003A94: D3F30048 0D236572
	buffer_load_dwordx4 a[16:19], v35, s[24:27], 0 offen       // 000000003A9C: E05C1000 80861023
	v_mfma_f32_16x16x32_fp8_fp8 v[72:75], a[116:117], v[180:181], v[72:75]// 000000003AA4: D3F30048 0D236974
	v_mfma_f32_16x16x32_fp8_fp8 v[72:75], a[118:119], v[182:183], v[72:75]// 000000003AAC: D3F30048 0D236D76
	v_mfma_f32_16x16x32_fp8_fp8 v[72:75], a[120:121], v[184:185], v[72:75]// 000000003AB4: D3F30048 0D237178
	v_mfma_f32_16x16x32_fp8_fp8 v[72:75], a[122:123], v[186:187], v[72:75]// 000000003ABC: D3F30048 0D23757A
	buffer_load_dwordx4 a[20:23], v35, s[24:27], 0 offen offset:1024// 000000003AC4: E05C1400 80861423
	v_mfma_f32_16x16x32_fp8_fp8 v[72:75], a[124:125], v[188:189], v[72:75]// 000000003ACC: D3F30048 0D23797C
	v_mfma_f32_16x16x32_fp8_fp8 v[72:75], a[126:127], v[190:191], v[72:75]// 000000003AD4: D3F30048 0D237D7E
	v_mfma_f32_16x16x32_fp8_fp8 v[76:79], a[112:113], v[192:193], v[76:79]// 000000003ADC: D3F3004C 0D338170
	v_mfma_f32_16x16x32_fp8_fp8 v[76:79], a[114:115], v[194:195], v[76:79]// 000000003AE4: D3F3004C 0D338572
	buffer_load_dwordx4 a[24:27], v35, s[24:27], 0 offen offset:2048// 000000003AEC: E05C1800 80861823
	v_mfma_f32_16x16x32_fp8_fp8 v[76:79], a[116:117], v[196:197], v[76:79]// 000000003AF4: D3F3004C 0D338974
	v_mfma_f32_16x16x32_fp8_fp8 v[76:79], a[118:119], v[198:199], v[76:79]// 000000003AFC: D3F3004C 0D338D76
	v_mfma_f32_16x16x32_fp8_fp8 v[76:79], a[120:121], v[200:201], v[76:79]// 000000003B04: D3F3004C 0D339178
	v_mfma_f32_16x16x32_fp8_fp8 v[76:79], a[122:123], v[202:203], v[76:79]// 000000003B0C: D3F3004C 0D33957A
	buffer_load_dwordx4 a[28:31], v35, s[24:27], 0 offen offset:3072// 000000003B14: E05C1C00 80861C23
	v_mfma_f32_16x16x32_fp8_fp8 v[76:79], a[124:125], v[204:205], v[76:79]// 000000003B1C: D3F3004C 0D33997C
	v_mfma_f32_16x16x32_fp8_fp8 v[76:79], a[126:127], v[206:207], v[76:79]// 000000003B24: D3F3004C 0D339D7E
	s_waitcnt vmcnt(20)                                        // 000000003B2C: BF8C4F74
	v_mfma_f32_16x16x32_fp8_fp8 v[80:83], a[128:129], v[176:177], v[80:83]// 000000003B30: D3F30050 0D436180
	v_mfma_f32_16x16x32_fp8_fp8 v[80:83], a[130:131], v[178:179], v[80:83]// 000000003B38: D3F30050 0D436582
	buffer_load_dwordx4 a[32:35], v36, s[24:27], 0 offen       // 000000003B40: E05C1000 80862024
	v_mfma_f32_16x16x32_fp8_fp8 v[80:83], a[132:133], v[180:181], v[80:83]// 000000003B48: D3F30050 0D436984
	v_mfma_f32_16x16x32_fp8_fp8 v[80:83], a[134:135], v[182:183], v[80:83]// 000000003B50: D3F30050 0D436D86
	ds_read_b128 v[208:211], v2 offset:8320                    // 000000003B58: D9FE2080 D0000002
	v_mfma_f32_16x16x32_fp8_fp8 v[80:83], a[136:137], v[184:185], v[80:83]// 000000003B60: D3F30050 0D437188
	v_mfma_f32_16x16x32_fp8_fp8 v[80:83], a[138:139], v[186:187], v[80:83]// 000000003B68: D3F30050 0D43758A
	buffer_load_dwordx4 a[36:39], v36, s[24:27], 0 offen offset:1024// 000000003B70: E05C1400 80862424
	v_mfma_f32_16x16x32_fp8_fp8 v[80:83], a[140:141], v[188:189], v[80:83]// 000000003B78: D3F30050 0D43798C
	v_mfma_f32_16x16x32_fp8_fp8 v[80:83], a[142:143], v[190:191], v[80:83]// 000000003B80: D3F30050 0D437D8E
	ds_read_b128 v[212:215], v2 offset:8384                    // 000000003B88: D9FE20C0 D4000002
	v_mfma_f32_16x16x32_fp8_fp8 v[84:87], a[128:129], v[192:193], v[84:87]// 000000003B90: D3F30054 0D538180
	v_mfma_f32_16x16x32_fp8_fp8 v[84:87], a[130:131], v[194:195], v[84:87]// 000000003B98: D3F30054 0D538582
	buffer_load_dwordx4 a[40:43], v36, s[24:27], 0 offen offset:2048// 000000003BA0: E05C1800 80862824
	v_mfma_f32_16x16x32_fp8_fp8 v[84:87], a[132:133], v[196:197], v[84:87]// 000000003BA8: D3F30054 0D538984
	v_mfma_f32_16x16x32_fp8_fp8 v[84:87], a[134:135], v[198:199], v[84:87]// 000000003BB0: D3F30054 0D538D86
	ds_read_b128 v[216:219], v2 offset:8448                    // 000000003BB8: D9FE2100 D8000002
	v_mfma_f32_16x16x32_fp8_fp8 v[84:87], a[136:137], v[200:201], v[84:87]// 000000003BC0: D3F30054 0D539188
	v_mfma_f32_16x16x32_fp8_fp8 v[84:87], a[138:139], v[202:203], v[84:87]// 000000003BC8: D3F30054 0D53958A
	buffer_load_dwordx4 a[44:47], v36, s[24:27], 0 offen offset:3072// 000000003BD0: E05C1C00 80862C24
	v_mfma_f32_16x16x32_fp8_fp8 v[84:87], a[140:141], v[204:205], v[84:87]// 000000003BD8: D3F30054 0D53998C
	v_mfma_f32_16x16x32_fp8_fp8 v[84:87], a[142:143], v[206:207], v[84:87]// 000000003BE0: D3F30054 0D539D8E
	ds_read_b128 v[220:223], v2 offset:8512                    // 000000003BE8: D9FE2140 DC000002
	s_waitcnt vmcnt(20)                                        // 000000003BF0: BF8C4F74
	v_mfma_f32_16x16x32_fp8_fp8 v[88:91], a[144:145], v[176:177], v[88:91]// 000000003BF4: D3F30058 0D636190
	v_mfma_f32_16x16x32_fp8_fp8 v[88:91], a[146:147], v[178:179], v[88:91]// 000000003BFC: D3F30058 0D636592
	buffer_load_dwordx4 a[48:51], v37, s[24:27], 0 offen       // 000000003C04: E05C1000 80863025
	v_mfma_f32_16x16x32_fp8_fp8 v[88:91], a[148:149], v[180:181], v[88:91]// 000000003C0C: D3F30058 0D636994
	v_mfma_f32_16x16x32_fp8_fp8 v[88:91], a[150:151], v[182:183], v[88:91]// 000000003C14: D3F30058 0D636D96
	ds_read_b128 v[224:227], v2 offset:9344                    // 000000003C1C: D9FE2480 E0000002
	v_mfma_f32_16x16x32_fp8_fp8 v[88:91], a[152:153], v[184:185], v[88:91]// 000000003C24: D3F30058 0D637198
	v_mfma_f32_16x16x32_fp8_fp8 v[88:91], a[154:155], v[186:187], v[88:91]// 000000003C2C: D3F30058 0D63759A
	buffer_load_dwordx4 a[52:55], v37, s[24:27], 0 offen offset:1024// 000000003C34: E05C1400 80863425
	v_mfma_f32_16x16x32_fp8_fp8 v[88:91], a[156:157], v[188:189], v[88:91]// 000000003C3C: D3F30058 0D63799C
	v_mfma_f32_16x16x32_fp8_fp8 v[88:91], a[158:159], v[190:191], v[88:91]// 000000003C44: D3F30058 0D637D9E
	ds_read_b128 v[228:231], v2 offset:9408                    // 000000003C4C: D9FE24C0 E4000002
	v_mfma_f32_16x16x32_fp8_fp8 v[92:95], a[144:145], v[192:193], v[92:95]// 000000003C54: D3F3005C 0D738190
	v_mfma_f32_16x16x32_fp8_fp8 v[92:95], a[146:147], v[194:195], v[92:95]// 000000003C5C: D3F3005C 0D738592
	buffer_load_dwordx4 a[56:59], v37, s[24:27], 0 offen offset:2048// 000000003C64: E05C1800 80863825
	v_mfma_f32_16x16x32_fp8_fp8 v[92:95], a[148:149], v[196:197], v[92:95]// 000000003C6C: D3F3005C 0D738994
	v_mfma_f32_16x16x32_fp8_fp8 v[92:95], a[150:151], v[198:199], v[92:95]// 000000003C74: D3F3005C 0D738D96
	ds_read_b128 v[232:235], v2 offset:9472                    // 000000003C7C: D9FE2500 E8000002
	v_mfma_f32_16x16x32_fp8_fp8 v[92:95], a[152:153], v[200:201], v[92:95]// 000000003C84: D3F3005C 0D739198
	v_mfma_f32_16x16x32_fp8_fp8 v[92:95], a[154:155], v[202:203], v[92:95]// 000000003C8C: D3F3005C 0D73959A
	buffer_load_dwordx4 a[60:63], v37, s[24:27], 0 offen offset:3072// 000000003C94: E05C1C00 80863C25
	v_mfma_f32_16x16x32_fp8_fp8 v[92:95], a[156:157], v[204:205], v[92:95]// 000000003C9C: D3F3005C 0D73999C
	v_mfma_f32_16x16x32_fp8_fp8 v[92:95], a[158:159], v[206:207], v[92:95]// 000000003CA4: D3F3005C 0D739D9E
	ds_read_b128 v[236:239], v2 offset:9536                    // 000000003CAC: D9FE2540 EC000002
	s_waitcnt vmcnt(20)                                        // 000000003CB4: BF8C4F74
	v_mfma_f32_16x16x32_fp8_fp8 v[96:99], a[160:161], v[176:177], v[96:99]// 000000003CB8: D3F30060 0D8361A0
	v_mfma_f32_16x16x32_fp8_fp8 v[96:99], a[162:163], v[178:179], v[96:99]// 000000003CC0: D3F30060 0D8365A2
	buffer_load_dwordx4 a[64:67], v38, s[24:27], 0 offen       // 000000003CC8: E05C1000 80864026
	v_mfma_f32_16x16x32_fp8_fp8 v[96:99], a[164:165], v[180:181], v[96:99]// 000000003CD0: D3F30060 0D8369A4
	v_mfma_f32_16x16x32_fp8_fp8 v[96:99], a[166:167], v[182:183], v[96:99]// 000000003CD8: D3F30060 0D836DA6
	v_mfma_f32_16x16x32_fp8_fp8 v[96:99], a[168:169], v[184:185], v[96:99]// 000000003CE0: D3F30060 0D8371A8
	v_mfma_f32_16x16x32_fp8_fp8 v[96:99], a[170:171], v[186:187], v[96:99]// 000000003CE8: D3F30060 0D8375AA
	buffer_load_dwordx4 a[68:71], v38, s[24:27], 0 offen offset:1024// 000000003CF0: E05C1400 80864426
	v_mfma_f32_16x16x32_fp8_fp8 v[96:99], a[172:173], v[188:189], v[96:99]// 000000003CF8: D3F30060 0D8379AC
	v_mfma_f32_16x16x32_fp8_fp8 v[96:99], a[174:175], v[190:191], v[96:99]// 000000003D00: D3F30060 0D837DAE
	v_mfma_f32_16x16x32_fp8_fp8 v[100:103], a[160:161], v[192:193], v[100:103]// 000000003D08: D3F30064 0D9381A0
	v_mfma_f32_16x16x32_fp8_fp8 v[100:103], a[162:163], v[194:195], v[100:103]// 000000003D10: D3F30064 0D9385A2
	buffer_load_dwordx4 a[72:75], v38, s[24:27], 0 offen offset:2048// 000000003D18: E05C1800 80864826
	v_mfma_f32_16x16x32_fp8_fp8 v[100:103], a[164:165], v[196:197], v[100:103]// 000000003D20: D3F30064 0D9389A4
	v_mfma_f32_16x16x32_fp8_fp8 v[100:103], a[166:167], v[198:199], v[100:103]// 000000003D28: D3F30064 0D938DA6
	v_mfma_f32_16x16x32_fp8_fp8 v[100:103], a[168:169], v[200:201], v[100:103]// 000000003D30: D3F30064 0D9391A8
	v_mfma_f32_16x16x32_fp8_fp8 v[100:103], a[170:171], v[202:203], v[100:103]// 000000003D38: D3F30064 0D9395AA
	buffer_load_dwordx4 a[76:79], v38, s[24:27], 0 offen offset:3072// 000000003D40: E05C1C00 80864C26
	v_mfma_f32_16x16x32_fp8_fp8 v[100:103], a[172:173], v[204:205], v[100:103]// 000000003D48: D3F30064 0D9399AC
	v_mfma_f32_16x16x32_fp8_fp8 v[100:103], a[174:175], v[206:207], v[100:103]// 000000003D50: D3F30064 0D939DAE
	s_waitcnt vmcnt(20)                                        // 000000003D58: BF8C4F74
	v_mfma_f32_16x16x32_fp8_fp8 v[104:107], a[176:177], v[176:177], v[104:107]// 000000003D5C: D3F30068 0DA361B0
	v_mfma_f32_16x16x32_fp8_fp8 v[104:107], a[178:179], v[178:179], v[104:107]// 000000003D64: D3F30068 0DA365B2
	buffer_load_dwordx4 a[80:83], v39, s[24:27], 0 offen       // 000000003D6C: E05C1000 80865027
	v_mfma_f32_16x16x32_fp8_fp8 v[104:107], a[180:181], v[180:181], v[104:107]// 000000003D74: D3F30068 0DA369B4
	v_mfma_f32_16x16x32_fp8_fp8 v[104:107], a[182:183], v[182:183], v[104:107]// 000000003D7C: D3F30068 0DA36DB6
	v_mfma_f32_16x16x32_fp8_fp8 v[104:107], a[184:185], v[184:185], v[104:107]// 000000003D84: D3F30068 0DA371B8
	v_mfma_f32_16x16x32_fp8_fp8 v[104:107], a[186:187], v[186:187], v[104:107]// 000000003D8C: D3F30068 0DA375BA
	buffer_load_dwordx4 a[84:87], v39, s[24:27], 0 offen offset:1024// 000000003D94: E05C1400 80865427
	v_mfma_f32_16x16x32_fp8_fp8 v[104:107], a[188:189], v[188:189], v[104:107]// 000000003D9C: D3F30068 0DA379BC
	v_mfma_f32_16x16x32_fp8_fp8 v[104:107], a[190:191], v[190:191], v[104:107]// 000000003DA4: D3F30068 0DA37DBE
	v_mfma_f32_16x16x32_fp8_fp8 v[108:111], a[176:177], v[192:193], v[108:111]// 000000003DAC: D3F3006C 0DB381B0
	v_mfma_f32_16x16x32_fp8_fp8 v[108:111], a[178:179], v[194:195], v[108:111]// 000000003DB4: D3F3006C 0DB385B2
	buffer_load_dwordx4 a[88:91], v39, s[24:27], 0 offen offset:2048// 000000003DBC: E05C1800 80865827
	v_mfma_f32_16x16x32_fp8_fp8 v[108:111], a[180:181], v[196:197], v[108:111]// 000000003DC4: D3F3006C 0DB389B4
	v_mfma_f32_16x16x32_fp8_fp8 v[108:111], a[182:183], v[198:199], v[108:111]// 000000003DCC: D3F3006C 0DB38DB6
	v_mfma_f32_16x16x32_fp8_fp8 v[108:111], a[184:185], v[200:201], v[108:111]// 000000003DD4: D3F3006C 0DB391B8
	v_mfma_f32_16x16x32_fp8_fp8 v[108:111], a[186:187], v[202:203], v[108:111]// 000000003DDC: D3F3006C 0DB395BA
	buffer_load_dwordx4 a[92:95], v39, s[24:27], 0 offen offset:3072// 000000003DE4: E05C1C00 80865C27
	v_mfma_f32_16x16x32_fp8_fp8 v[108:111], a[188:189], v[204:205], v[108:111]// 000000003DEC: D3F3006C 0DB399BC
	v_mfma_f32_16x16x32_fp8_fp8 v[108:111], a[190:191], v[206:207], v[108:111]// 000000003DF4: D3F3006C 0DB39DBE
	s_add_u32 s60, 0x200, s80                                  // 000000003DFC: 803C50FF 00000200
	s_cmp_lt_u32 s60, s81                                      // 000000003E04: BF0A513C
	s_cselect_b32 s57, s57, 0                                  // 000000003E08: 85398039
	s_add_u32 s60, 0x200, s80                                  // 000000003E0C: 803C50FF 00000200
	s_cmp_lt_u32 s60, s81                                      // 000000003E14: BF0A513C
	s_cselect_b32 s58, s58, 0                                  // 000000003E18: 853A803A
	s_add_u32 s20, s57, s20                                    // 000000003E1C: 80141439
	s_addc_u32 s21, 0, s21                                     // 000000003E20: 82151580
	s_add_u32 s24, s58, s24                                    // 000000003E24: 8018183A
	s_addc_u32 s25, 0, s25                                     // 000000003E28: 82191980
	s_add_u32 s92, s90, s92                                    // 000000003E2C: 805C5C5A
	s_addc_u32 s93, 0, s93                                     // 000000003E30: 825D5D80
	s_addk_i32 s80, 0x100                                      // 000000003E34: B7500100
	s_cmp_lt_i32 s80, s81                                      // 000000003E38: BF045150
	s_cbranch_scc0 label_06FD                                  // 000000003E3C: BF84022D
	s_waitcnt vmcnt(16) lgkmcnt(0)                             // 000000003E40: BF8C4070
	s_barrier                                                  // 000000003E44: BF8A0000
	v_mfma_f32_16x16x32_fp8_fp8 v[128:131], a[0:1], v[208:209], v[128:131]// 000000003E48: D3F30080 0E03A100
	v_mfma_f32_16x16x32_fp8_fp8 v[128:131], a[2:3], v[210:211], v[128:131]// 000000003E50: D3F30080 0E03A502
	buffer_load_dwordx4 a[96:99], v34, s[92:95], 0 offen       // 000000003E58: E05C1000 80976022
	v_mfma_f32_16x16x32_fp8_fp8 v[128:131], a[4:5], v[212:213], v[128:131]// 000000003E60: D3F30080 0E03A904
	v_mfma_f32_16x16x32_fp8_fp8 v[128:131], a[6:7], v[214:215], v[128:131]// 000000003E68: D3F30080 0E03AD06
	buffer_load_dword v26, s[20:23], 0 offen lds               // 000000003E70: E0511000 8005001A
	s_add_u32 m0, 0x100, s50                                   // 000000003E78: 807C32FF 00000100
	v_mfma_f32_16x16x32_fp8_fp8 v[128:131], a[8:9], v[216:217], v[128:131]// 000000003E80: D3F30080 0E03B108
	v_mfma_f32_16x16x32_fp8_fp8 v[128:131], a[10:11], v[218:219], v[128:131]// 000000003E88: D3F30080 0E03B50A
	buffer_load_dwordx4 a[100:103], v34, s[92:95], 0 offen offset:1024// 000000003E90: E05C1400 80976422
	v_mfma_f32_16x16x32_fp8_fp8 v[128:131], a[12:13], v[220:221], v[128:131]// 000000003E98: D3F30080 0E03B90C
	v_mfma_f32_16x16x32_fp8_fp8 v[128:131], a[14:15], v[222:223], v[128:131]// 000000003EA0: D3F30080 0E03BD0E
	buffer_load_dword v27, s[20:23], 0 offen lds               // 000000003EA8: E0511000 8005001B
	s_add_u32 m0, 0x200, s50                                   // 000000003EB0: 807C32FF 00000200
	v_mfma_f32_16x16x32_fp8_fp8 v[132:135], a[0:1], v[224:225], v[132:135]// 000000003EB8: D3F30084 0E13C100
	v_mfma_f32_16x16x32_fp8_fp8 v[132:135], a[2:3], v[226:227], v[132:135]// 000000003EC0: D3F30084 0E13C502
	buffer_load_dwordx4 a[104:107], v34, s[92:95], 0 offen offset:2048// 000000003EC8: E05C1800 80976822
	v_mfma_f32_16x16x32_fp8_fp8 v[132:135], a[4:5], v[228:229], v[132:135]// 000000003ED0: D3F30084 0E13C904
	v_mfma_f32_16x16x32_fp8_fp8 v[132:135], a[6:7], v[230:231], v[132:135]// 000000003ED8: D3F30084 0E13CD06
	buffer_load_dword v28, s[20:23], 0 offen lds               // 000000003EE0: E0511000 8005001C
	s_add_u32 m0, 0x300, s50                                   // 000000003EE8: 807C32FF 00000300
	v_mfma_f32_16x16x32_fp8_fp8 v[132:135], a[8:9], v[232:233], v[132:135]// 000000003EF0: D3F30084 0E13D108
	v_mfma_f32_16x16x32_fp8_fp8 v[132:135], a[10:11], v[234:235], v[132:135]// 000000003EF8: D3F30084 0E13D50A
	buffer_load_dwordx4 a[108:111], v34, s[92:95], 0 offen offset:3072// 000000003F00: E05C1C00 80976C22
	v_mfma_f32_16x16x32_fp8_fp8 v[132:135], a[12:13], v[236:237], v[132:135]// 000000003F08: D3F30084 0E13D90C
	v_mfma_f32_16x16x32_fp8_fp8 v[132:135], a[14:15], v[238:239], v[132:135]// 000000003F10: D3F30084 0E13DD0E
	buffer_load_dword v29, s[20:23], 0 offen lds               // 000000003F18: E0511000 8005001D
	s_add_u32 m0, 0x400, s50                                   // 000000003F20: 807C32FF 00000400
	v_mfma_f32_16x16x32_fp8_fp8 v[136:139], a[16:17], v[208:209], v[136:139]// 000000003F28: D3F30088 0E23A110
	v_mfma_f32_16x16x32_fp8_fp8 v[136:139], a[18:19], v[210:211], v[136:139]// 000000003F30: D3F30088 0E23A512
	buffer_load_dwordx4 a[112:115], v35, s[92:95], 0 offen     // 000000003F38: E05C1000 80977023
	v_mfma_f32_16x16x32_fp8_fp8 v[136:139], a[20:21], v[212:213], v[136:139]// 000000003F40: D3F30088 0E23A914
	v_mfma_f32_16x16x32_fp8_fp8 v[136:139], a[22:23], v[214:215], v[136:139]// 000000003F48: D3F30088 0E23AD16
	buffer_load_dword v30, s[20:23], 0 offen lds               // 000000003F50: E0511000 8005001E
	s_add_u32 m0, 0x500, s50                                   // 000000003F58: 807C32FF 00000500
	v_mfma_f32_16x16x32_fp8_fp8 v[136:139], a[24:25], v[216:217], v[136:139]// 000000003F60: D3F30088 0E23B118
	v_mfma_f32_16x16x32_fp8_fp8 v[136:139], a[26:27], v[218:219], v[136:139]// 000000003F68: D3F30088 0E23B51A
	buffer_load_dwordx4 a[116:119], v35, s[92:95], 0 offen offset:1024// 000000003F70: E05C1400 80977423
	v_mfma_f32_16x16x32_fp8_fp8 v[136:139], a[28:29], v[220:221], v[136:139]// 000000003F78: D3F30088 0E23B91C
	v_mfma_f32_16x16x32_fp8_fp8 v[136:139], a[30:31], v[222:223], v[136:139]// 000000003F80: D3F30088 0E23BD1E
	buffer_load_dword v31, s[20:23], 0 offen lds               // 000000003F88: E0511000 8005001F
	s_add_u32 m0, 0x600, s50                                   // 000000003F90: 807C32FF 00000600
	v_mfma_f32_16x16x32_fp8_fp8 v[140:143], a[16:17], v[224:225], v[140:143]// 000000003F98: D3F3008C 0E33C110
	v_mfma_f32_16x16x32_fp8_fp8 v[140:143], a[18:19], v[226:227], v[140:143]// 000000003FA0: D3F3008C 0E33C512
	buffer_load_dwordx4 a[120:123], v35, s[92:95], 0 offen offset:2048// 000000003FA8: E05C1800 80977823
	v_mfma_f32_16x16x32_fp8_fp8 v[140:143], a[20:21], v[228:229], v[140:143]// 000000003FB0: D3F3008C 0E33C914
	v_mfma_f32_16x16x32_fp8_fp8 v[140:143], a[22:23], v[230:231], v[140:143]// 000000003FB8: D3F3008C 0E33CD16
	buffer_load_dword v32, s[20:23], 0 offen lds               // 000000003FC0: E0511000 80050020
	s_add_u32 m0, 0x700, s50                                   // 000000003FC8: 807C32FF 00000700
	v_mfma_f32_16x16x32_fp8_fp8 v[140:143], a[24:25], v[232:233], v[140:143]// 000000003FD0: D3F3008C 0E33D118
	v_mfma_f32_16x16x32_fp8_fp8 v[140:143], a[26:27], v[234:235], v[140:143]// 000000003FD8: D3F3008C 0E33D51A
	buffer_load_dwordx4 a[124:127], v35, s[92:95], 0 offen offset:3072// 000000003FE0: E05C1C00 80977C23
	v_mfma_f32_16x16x32_fp8_fp8 v[140:143], a[28:29], v[236:237], v[140:143]// 000000003FE8: D3F3008C 0E33D91C
	v_mfma_f32_16x16x32_fp8_fp8 v[140:143], a[30:31], v[238:239], v[140:143]// 000000003FF0: D3F3008C 0E33DD1E
	buffer_load_dword v33, s[20:23], 0 offen lds               // 000000003FF8: E0511000 80050021
	s_add_u32 m0, 0, s51                                       // 000000004000: 807C3380
	s_waitcnt vmcnt(28)                                        // 000000004004: BF8C4F7C
	v_mfma_f32_16x16x32_fp8_fp8 v[144:147], a[32:33], v[208:209], v[144:147]// 000000004008: D3F30090 0E43A120
	v_mfma_f32_16x16x32_fp8_fp8 v[144:147], a[34:35], v[210:211], v[144:147]// 000000004010: D3F30090 0E43A522
	buffer_load_dwordx4 a[128:131], v36, s[92:95], 0 offen     // 000000004018: E05C1000 80978024
	v_mfma_f32_16x16x32_fp8_fp8 v[144:147], a[36:37], v[212:213], v[144:147]// 000000004020: D3F30090 0E43A924
	v_mfma_f32_16x16x32_fp8_fp8 v[144:147], a[38:39], v[214:215], v[144:147]// 000000004028: D3F30090 0E43AD26
	v_mfma_f32_16x16x32_fp8_fp8 v[144:147], a[40:41], v[216:217], v[144:147]// 000000004030: D3F30090 0E43B128
	v_mfma_f32_16x16x32_fp8_fp8 v[144:147], a[42:43], v[218:219], v[144:147]// 000000004038: D3F30090 0E43B52A
	buffer_load_dwordx4 a[132:135], v36, s[92:95], 0 offen offset:1024// 000000004040: E05C1400 80978424
	v_mfma_f32_16x16x32_fp8_fp8 v[144:147], a[44:45], v[220:221], v[144:147]// 000000004048: D3F30090 0E43B92C
	v_mfma_f32_16x16x32_fp8_fp8 v[144:147], a[46:47], v[222:223], v[144:147]// 000000004050: D3F30090 0E43BD2E
	v_mfma_f32_16x16x32_fp8_fp8 v[148:151], a[32:33], v[224:225], v[148:151]// 000000004058: D3F30094 0E53C120
	v_mfma_f32_16x16x32_fp8_fp8 v[148:151], a[34:35], v[226:227], v[148:151]// 000000004060: D3F30094 0E53C522
	buffer_load_dwordx4 a[136:139], v36, s[92:95], 0 offen offset:2048// 000000004068: E05C1800 80978824
	v_mfma_f32_16x16x32_fp8_fp8 v[148:151], a[36:37], v[228:229], v[148:151]// 000000004070: D3F30094 0E53C924
	v_mfma_f32_16x16x32_fp8_fp8 v[148:151], a[38:39], v[230:231], v[148:151]// 000000004078: D3F30094 0E53CD26
	v_mfma_f32_16x16x32_fp8_fp8 v[148:151], a[40:41], v[232:233], v[148:151]// 000000004080: D3F30094 0E53D128
	v_mfma_f32_16x16x32_fp8_fp8 v[148:151], a[42:43], v[234:235], v[148:151]// 000000004088: D3F30094 0E53D52A
	buffer_load_dwordx4 a[140:143], v36, s[92:95], 0 offen offset:3072// 000000004090: E05C1C00 80978C24
	v_mfma_f32_16x16x32_fp8_fp8 v[148:151], a[44:45], v[236:237], v[148:151]// 000000004098: D3F30094 0E53D92C
	v_mfma_f32_16x16x32_fp8_fp8 v[148:151], a[46:47], v[238:239], v[148:151]// 0000000040A0: D3F30094 0E53DD2E
	s_waitcnt vmcnt(28)                                        // 0000000040A8: BF8C4F7C
	v_mfma_f32_16x16x32_fp8_fp8 v[152:155], a[48:49], v[208:209], v[152:155]// 0000000040AC: D3F30098 0E63A130
	v_mfma_f32_16x16x32_fp8_fp8 v[152:155], a[50:51], v[210:211], v[152:155]// 0000000040B4: D3F30098 0E63A532
	buffer_load_dwordx4 a[144:147], v37, s[92:95], 0 offen     // 0000000040BC: E05C1000 80979025
	v_mfma_f32_16x16x32_fp8_fp8 v[152:155], a[52:53], v[212:213], v[152:155]// 0000000040C4: D3F30098 0E63A934
	v_mfma_f32_16x16x32_fp8_fp8 v[152:155], a[54:55], v[214:215], v[152:155]// 0000000040CC: D3F30098 0E63AD36
	v_mfma_f32_16x16x32_fp8_fp8 v[152:155], a[56:57], v[216:217], v[152:155]// 0000000040D4: D3F30098 0E63B138
	v_mfma_f32_16x16x32_fp8_fp8 v[152:155], a[58:59], v[218:219], v[152:155]// 0000000040DC: D3F30098 0E63B53A
	buffer_load_dwordx4 a[148:151], v37, s[92:95], 0 offen offset:1024// 0000000040E4: E05C1400 80979425
	v_mfma_f32_16x16x32_fp8_fp8 v[152:155], a[60:61], v[220:221], v[152:155]// 0000000040EC: D3F30098 0E63B93C
	v_mfma_f32_16x16x32_fp8_fp8 v[152:155], a[62:63], v[222:223], v[152:155]// 0000000040F4: D3F30098 0E63BD3E
	v_mfma_f32_16x16x32_fp8_fp8 v[156:159], a[48:49], v[224:225], v[156:159]// 0000000040FC: D3F3009C 0E73C130
	v_mfma_f32_16x16x32_fp8_fp8 v[156:159], a[50:51], v[226:227], v[156:159]// 000000004104: D3F3009C 0E73C532
	buffer_load_dwordx4 a[152:155], v37, s[92:95], 0 offen offset:2048// 00000000410C: E05C1800 80979825
	v_mfma_f32_16x16x32_fp8_fp8 v[156:159], a[52:53], v[228:229], v[156:159]// 000000004114: D3F3009C 0E73C934
	v_mfma_f32_16x16x32_fp8_fp8 v[156:159], a[54:55], v[230:231], v[156:159]// 00000000411C: D3F3009C 0E73CD36
	v_mfma_f32_16x16x32_fp8_fp8 v[156:159], a[56:57], v[232:233], v[156:159]// 000000004124: D3F3009C 0E73D138
	v_mfma_f32_16x16x32_fp8_fp8 v[156:159], a[58:59], v[234:235], v[156:159]// 00000000412C: D3F3009C 0E73D53A
	buffer_load_dwordx4 a[156:159], v37, s[92:95], 0 offen offset:3072// 000000004134: E05C1C00 80979C25
	v_mfma_f32_16x16x32_fp8_fp8 v[156:159], a[60:61], v[236:237], v[156:159]// 00000000413C: D3F3009C 0E73D93C
	v_mfma_f32_16x16x32_fp8_fp8 v[156:159], a[62:63], v[238:239], v[156:159]// 000000004144: D3F3009C 0E73DD3E
	s_waitcnt vmcnt(28)                                        // 00000000414C: BF8C4F7C
	v_mfma_f32_16x16x32_fp8_fp8 v[160:163], a[64:65], v[208:209], v[160:163]// 000000004150: D3F300A0 0E83A140
	v_mfma_f32_16x16x32_fp8_fp8 v[160:163], a[66:67], v[210:211], v[160:163]// 000000004158: D3F300A0 0E83A542
	buffer_load_dwordx4 a[160:163], v38, s[92:95], 0 offen     // 000000004160: E05C1000 8097A026
	v_mfma_f32_16x16x32_fp8_fp8 v[160:163], a[68:69], v[212:213], v[160:163]// 000000004168: D3F300A0 0E83A944
	v_mfma_f32_16x16x32_fp8_fp8 v[160:163], a[70:71], v[214:215], v[160:163]// 000000004170: D3F300A0 0E83AD46
	v_mfma_f32_16x16x32_fp8_fp8 v[160:163], a[72:73], v[216:217], v[160:163]// 000000004178: D3F300A0 0E83B148
	v_mfma_f32_16x16x32_fp8_fp8 v[160:163], a[74:75], v[218:219], v[160:163]// 000000004180: D3F300A0 0E83B54A
	buffer_load_dwordx4 a[164:167], v38, s[92:95], 0 offen offset:1024// 000000004188: E05C1400 8097A426
	v_mfma_f32_16x16x32_fp8_fp8 v[160:163], a[76:77], v[220:221], v[160:163]// 000000004190: D3F300A0 0E83B94C
	v_mfma_f32_16x16x32_fp8_fp8 v[160:163], a[78:79], v[222:223], v[160:163]// 000000004198: D3F300A0 0E83BD4E
	v_mfma_f32_16x16x32_fp8_fp8 v[164:167], a[64:65], v[224:225], v[164:167]// 0000000041A0: D3F300A4 0E93C140
	v_mfma_f32_16x16x32_fp8_fp8 v[164:167], a[66:67], v[226:227], v[164:167]// 0000000041A8: D3F300A4 0E93C542
	buffer_load_dwordx4 a[168:171], v38, s[92:95], 0 offen offset:2048// 0000000041B0: E05C1800 8097A826
	v_mfma_f32_16x16x32_fp8_fp8 v[164:167], a[68:69], v[228:229], v[164:167]// 0000000041B8: D3F300A4 0E93C944
	v_mfma_f32_16x16x32_fp8_fp8 v[164:167], a[70:71], v[230:231], v[164:167]// 0000000041C0: D3F300A4 0E93CD46
	v_mfma_f32_16x16x32_fp8_fp8 v[164:167], a[72:73], v[232:233], v[164:167]// 0000000041C8: D3F300A4 0E93D148
	v_mfma_f32_16x16x32_fp8_fp8 v[164:167], a[74:75], v[234:235], v[164:167]// 0000000041D0: D3F300A4 0E93D54A
	buffer_load_dwordx4 a[172:175], v38, s[92:95], 0 offen offset:3072// 0000000041D8: E05C1C00 8097AC26
	v_mfma_f32_16x16x32_fp8_fp8 v[164:167], a[76:77], v[236:237], v[164:167]// 0000000041E0: D3F300A4 0E93D94C
	v_mfma_f32_16x16x32_fp8_fp8 v[164:167], a[78:79], v[238:239], v[164:167]// 0000000041E8: D3F300A4 0E93DD4E
	s_waitcnt vmcnt(28)                                        // 0000000041F0: BF8C4F7C
	v_mfma_f32_16x16x32_fp8_fp8 v[168:171], a[80:81], v[208:209], v[168:171]// 0000000041F4: D3F300A8 0EA3A150
	v_mfma_f32_16x16x32_fp8_fp8 v[168:171], a[82:83], v[210:211], v[168:171]// 0000000041FC: D3F300A8 0EA3A552
	buffer_load_dwordx4 a[176:179], v39, s[92:95], 0 offen     // 000000004204: E05C1000 8097B027
	v_mfma_f32_16x16x32_fp8_fp8 v[168:171], a[84:85], v[212:213], v[168:171]// 00000000420C: D3F300A8 0EA3A954
	v_mfma_f32_16x16x32_fp8_fp8 v[168:171], a[86:87], v[214:215], v[168:171]// 000000004214: D3F300A8 0EA3AD56
	v_mfma_f32_16x16x32_fp8_fp8 v[168:171], a[88:89], v[216:217], v[168:171]// 00000000421C: D3F300A8 0EA3B158
	v_mfma_f32_16x16x32_fp8_fp8 v[168:171], a[90:91], v[218:219], v[168:171]// 000000004224: D3F300A8 0EA3B55A
	buffer_load_dwordx4 a[180:183], v39, s[92:95], 0 offen offset:1024// 00000000422C: E05C1400 8097B427
	v_mfma_f32_16x16x32_fp8_fp8 v[168:171], a[92:93], v[220:221], v[168:171]// 000000004234: D3F300A8 0EA3B95C
	v_mfma_f32_16x16x32_fp8_fp8 v[168:171], a[94:95], v[222:223], v[168:171]// 00000000423C: D3F300A8 0EA3BD5E
	v_mfma_f32_16x16x32_fp8_fp8 v[172:175], a[80:81], v[224:225], v[172:175]// 000000004244: D3F300AC 0EB3C150
	v_mfma_f32_16x16x32_fp8_fp8 v[172:175], a[82:83], v[226:227], v[172:175]// 00000000424C: D3F300AC 0EB3C552
	buffer_load_dwordx4 a[184:187], v39, s[92:95], 0 offen offset:2048// 000000004254: E05C1800 8097B827
	v_mfma_f32_16x16x32_fp8_fp8 v[172:175], a[84:85], v[228:229], v[172:175]// 00000000425C: D3F300AC 0EB3C954
	v_mfma_f32_16x16x32_fp8_fp8 v[172:175], a[86:87], v[230:231], v[172:175]// 000000004264: D3F300AC 0EB3CD56
	v_mfma_f32_16x16x32_fp8_fp8 v[172:175], a[88:89], v[232:233], v[172:175]// 00000000426C: D3F300AC 0EB3D158
	v_mfma_f32_16x16x32_fp8_fp8 v[172:175], a[90:91], v[234:235], v[172:175]// 000000004274: D3F300AC 0EB3D55A
	buffer_load_dwordx4 a[188:191], v39, s[92:95], 0 offen offset:3072// 00000000427C: E05C1C00 8097BC27
	v_mfma_f32_16x16x32_fp8_fp8 v[172:175], a[92:93], v[236:237], v[172:175]// 000000004284: D3F300AC 0EB3D95C
	v_mfma_f32_16x16x32_fp8_fp8 v[172:175], a[94:95], v[238:239], v[172:175]// 00000000428C: D3F300AC 0EB3DD5E
	s_waitcnt vmcnt(16)                                        // 000000004294: BF8C4F70
	s_barrier                                                  // 000000004298: BF8A0000
	v_mfma_f32_16x16x32_fp8_fp8 v[64:67], a[96:97], v[208:209], v[64:67]// 00000000429C: D3F30040 0D03A160
	v_mfma_f32_16x16x32_fp8_fp8 v[64:67], a[98:99], v[210:211], v[64:67]// 0000000042A4: D3F30040 0D03A562
	buffer_load_dwordx4 a[0:3], v34, s[24:27], 0 offen         // 0000000042AC: E05C1000 80860022
	v_mfma_f32_16x16x32_fp8_fp8 v[64:67], a[100:101], v[212:213], v[64:67]// 0000000042B4: D3F30040 0D03A964
	v_mfma_f32_16x16x32_fp8_fp8 v[64:67], a[102:103], v[214:215], v[64:67]// 0000000042BC: D3F30040 0D03AD66
	v_mfma_f32_16x16x32_fp8_fp8 v[64:67], a[104:105], v[216:217], v[64:67]// 0000000042C4: D3F30040 0D03B168
	v_mfma_f32_16x16x32_fp8_fp8 v[64:67], a[106:107], v[218:219], v[64:67]// 0000000042CC: D3F30040 0D03B56A
	buffer_load_dwordx4 a[4:7], v34, s[24:27], 0 offen offset:1024// 0000000042D4: E05C1400 80860422
	v_mfma_f32_16x16x32_fp8_fp8 v[64:67], a[108:109], v[220:221], v[64:67]// 0000000042DC: D3F30040 0D03B96C
	v_mfma_f32_16x16x32_fp8_fp8 v[64:67], a[110:111], v[222:223], v[64:67]// 0000000042E4: D3F30040 0D03BD6E
	v_mfma_f32_16x16x32_fp8_fp8 v[68:71], a[96:97], v[224:225], v[68:71]// 0000000042EC: D3F30044 0D13C160
	v_mfma_f32_16x16x32_fp8_fp8 v[68:71], a[98:99], v[226:227], v[68:71]// 0000000042F4: D3F30044 0D13C562
	buffer_load_dwordx4 a[8:11], v34, s[24:27], 0 offen offset:2048// 0000000042FC: E05C1800 80860822
	v_mfma_f32_16x16x32_fp8_fp8 v[68:71], a[100:101], v[228:229], v[68:71]// 000000004304: D3F30044 0D13C964
	v_mfma_f32_16x16x32_fp8_fp8 v[68:71], a[102:103], v[230:231], v[68:71]// 00000000430C: D3F30044 0D13CD66
	v_mfma_f32_16x16x32_fp8_fp8 v[68:71], a[104:105], v[232:233], v[68:71]// 000000004314: D3F30044 0D13D168
	v_mfma_f32_16x16x32_fp8_fp8 v[68:71], a[106:107], v[234:235], v[68:71]// 00000000431C: D3F30044 0D13D56A
	buffer_load_dwordx4 a[12:15], v34, s[24:27], 0 offen offset:3072// 000000004324: E05C1C00 80860C22
	v_mfma_f32_16x16x32_fp8_fp8 v[68:71], a[108:109], v[236:237], v[68:71]// 00000000432C: D3F30044 0D13D96C
	v_mfma_f32_16x16x32_fp8_fp8 v[68:71], a[110:111], v[238:239], v[68:71]// 000000004334: D3F30044 0D13DD6E
	v_mfma_f32_16x16x32_fp8_fp8 v[72:75], a[112:113], v[208:209], v[72:75]// 00000000433C: D3F30048 0D23A170
	v_mfma_f32_16x16x32_fp8_fp8 v[72:75], a[114:115], v[210:211], v[72:75]// 000000004344: D3F30048 0D23A572
	buffer_load_dwordx4 a[16:19], v35, s[24:27], 0 offen       // 00000000434C: E05C1000 80861023
	v_mfma_f32_16x16x32_fp8_fp8 v[72:75], a[116:117], v[212:213], v[72:75]// 000000004354: D3F30048 0D23A974
	v_mfma_f32_16x16x32_fp8_fp8 v[72:75], a[118:119], v[214:215], v[72:75]// 00000000435C: D3F30048 0D23AD76
	v_mfma_f32_16x16x32_fp8_fp8 v[72:75], a[120:121], v[216:217], v[72:75]// 000000004364: D3F30048 0D23B178
	v_mfma_f32_16x16x32_fp8_fp8 v[72:75], a[122:123], v[218:219], v[72:75]// 00000000436C: D3F30048 0D23B57A
	buffer_load_dwordx4 a[20:23], v35, s[24:27], 0 offen offset:1024// 000000004374: E05C1400 80861423
	v_mfma_f32_16x16x32_fp8_fp8 v[72:75], a[124:125], v[220:221], v[72:75]// 00000000437C: D3F30048 0D23B97C
	v_mfma_f32_16x16x32_fp8_fp8 v[72:75], a[126:127], v[222:223], v[72:75]// 000000004384: D3F30048 0D23BD7E
	v_mfma_f32_16x16x32_fp8_fp8 v[76:79], a[112:113], v[224:225], v[76:79]// 00000000438C: D3F3004C 0D33C170
	v_mfma_f32_16x16x32_fp8_fp8 v[76:79], a[114:115], v[226:227], v[76:79]// 000000004394: D3F3004C 0D33C572
	buffer_load_dwordx4 a[24:27], v35, s[24:27], 0 offen offset:2048// 00000000439C: E05C1800 80861823
	v_mfma_f32_16x16x32_fp8_fp8 v[76:79], a[116:117], v[228:229], v[76:79]// 0000000043A4: D3F3004C 0D33C974
	v_mfma_f32_16x16x32_fp8_fp8 v[76:79], a[118:119], v[230:231], v[76:79]// 0000000043AC: D3F3004C 0D33CD76
	v_mfma_f32_16x16x32_fp8_fp8 v[76:79], a[120:121], v[232:233], v[76:79]// 0000000043B4: D3F3004C 0D33D178
	v_mfma_f32_16x16x32_fp8_fp8 v[76:79], a[122:123], v[234:235], v[76:79]// 0000000043BC: D3F3004C 0D33D57A
	buffer_load_dwordx4 a[28:31], v35, s[24:27], 0 offen offset:3072// 0000000043C4: E05C1C00 80861C23
	v_mfma_f32_16x16x32_fp8_fp8 v[76:79], a[124:125], v[236:237], v[76:79]// 0000000043CC: D3F3004C 0D33D97C
	v_mfma_f32_16x16x32_fp8_fp8 v[76:79], a[126:127], v[238:239], v[76:79]// 0000000043D4: D3F3004C 0D33DD7E
	s_waitcnt vmcnt(20)                                        // 0000000043DC: BF8C4F74
	v_mfma_f32_16x16x32_fp8_fp8 v[80:83], a[128:129], v[208:209], v[80:83]// 0000000043E0: D3F30050 0D43A180
	v_mfma_f32_16x16x32_fp8_fp8 v[80:83], a[130:131], v[210:211], v[80:83]// 0000000043E8: D3F30050 0D43A582
	buffer_load_dwordx4 a[32:35], v36, s[24:27], 0 offen       // 0000000043F0: E05C1000 80862024
	v_mfma_f32_16x16x32_fp8_fp8 v[80:83], a[132:133], v[212:213], v[80:83]// 0000000043F8: D3F30050 0D43A984
	v_mfma_f32_16x16x32_fp8_fp8 v[80:83], a[134:135], v[214:215], v[80:83]// 000000004400: D3F30050 0D43AD86
	ds_read_b128 v[176:179], v2                                // 000000004408: D9FE0000 B0000002
	v_mfma_f32_16x16x32_fp8_fp8 v[80:83], a[136:137], v[216:217], v[80:83]// 000000004410: D3F30050 0D43B188
	v_mfma_f32_16x16x32_fp8_fp8 v[80:83], a[138:139], v[218:219], v[80:83]// 000000004418: D3F30050 0D43B58A
	buffer_load_dwordx4 a[36:39], v36, s[24:27], 0 offen offset:1024// 000000004420: E05C1400 80862424
	v_mfma_f32_16x16x32_fp8_fp8 v[80:83], a[140:141], v[220:221], v[80:83]// 000000004428: D3F30050 0D43B98C
	v_mfma_f32_16x16x32_fp8_fp8 v[80:83], a[142:143], v[222:223], v[80:83]// 000000004430: D3F30050 0D43BD8E
	ds_read_b128 v[180:183], v2 offset:64                      // 000000004438: D9FE0040 B4000002
	v_mfma_f32_16x16x32_fp8_fp8 v[84:87], a[128:129], v[224:225], v[84:87]// 000000004440: D3F30054 0D53C180
	v_mfma_f32_16x16x32_fp8_fp8 v[84:87], a[130:131], v[226:227], v[84:87]// 000000004448: D3F30054 0D53C582
	buffer_load_dwordx4 a[40:43], v36, s[24:27], 0 offen offset:2048// 000000004450: E05C1800 80862824
	v_mfma_f32_16x16x32_fp8_fp8 v[84:87], a[132:133], v[228:229], v[84:87]// 000000004458: D3F30054 0D53C984
	v_mfma_f32_16x16x32_fp8_fp8 v[84:87], a[134:135], v[230:231], v[84:87]// 000000004460: D3F30054 0D53CD86
	ds_read_b128 v[184:187], v2 offset:128                     // 000000004468: D9FE0080 B8000002
	v_mfma_f32_16x16x32_fp8_fp8 v[84:87], a[136:137], v[232:233], v[84:87]// 000000004470: D3F30054 0D53D188
	v_mfma_f32_16x16x32_fp8_fp8 v[84:87], a[138:139], v[234:235], v[84:87]// 000000004478: D3F30054 0D53D58A
	buffer_load_dwordx4 a[44:47], v36, s[24:27], 0 offen offset:3072// 000000004480: E05C1C00 80862C24
	v_mfma_f32_16x16x32_fp8_fp8 v[84:87], a[140:141], v[236:237], v[84:87]// 000000004488: D3F30054 0D53D98C
	v_mfma_f32_16x16x32_fp8_fp8 v[84:87], a[142:143], v[238:239], v[84:87]// 000000004490: D3F30054 0D53DD8E
	ds_read_b128 v[188:191], v2 offset:192                     // 000000004498: D9FE00C0 BC000002
	s_waitcnt vmcnt(20)                                        // 0000000044A0: BF8C4F74
	v_mfma_f32_16x16x32_fp8_fp8 v[88:91], a[144:145], v[208:209], v[88:91]// 0000000044A4: D3F30058 0D63A190
	v_mfma_f32_16x16x32_fp8_fp8 v[88:91], a[146:147], v[210:211], v[88:91]// 0000000044AC: D3F30058 0D63A592
	buffer_load_dwordx4 a[48:51], v37, s[24:27], 0 offen       // 0000000044B4: E05C1000 80863025
	v_mfma_f32_16x16x32_fp8_fp8 v[88:91], a[148:149], v[212:213], v[88:91]// 0000000044BC: D3F30058 0D63A994
	v_mfma_f32_16x16x32_fp8_fp8 v[88:91], a[150:151], v[214:215], v[88:91]// 0000000044C4: D3F30058 0D63AD96
	ds_read_b128 v[192:195], v2 offset:1024                    // 0000000044CC: D9FE0400 C0000002
	v_mfma_f32_16x16x32_fp8_fp8 v[88:91], a[152:153], v[216:217], v[88:91]// 0000000044D4: D3F30058 0D63B198
	v_mfma_f32_16x16x32_fp8_fp8 v[88:91], a[154:155], v[218:219], v[88:91]// 0000000044DC: D3F30058 0D63B59A
	buffer_load_dwordx4 a[52:55], v37, s[24:27], 0 offen offset:1024// 0000000044E4: E05C1400 80863425
	v_mfma_f32_16x16x32_fp8_fp8 v[88:91], a[156:157], v[220:221], v[88:91]// 0000000044EC: D3F30058 0D63B99C
	v_mfma_f32_16x16x32_fp8_fp8 v[88:91], a[158:159], v[222:223], v[88:91]// 0000000044F4: D3F30058 0D63BD9E
	ds_read_b128 v[196:199], v2 offset:1088                    // 0000000044FC: D9FE0440 C4000002
	v_mfma_f32_16x16x32_fp8_fp8 v[92:95], a[144:145], v[224:225], v[92:95]// 000000004504: D3F3005C 0D73C190
	v_mfma_f32_16x16x32_fp8_fp8 v[92:95], a[146:147], v[226:227], v[92:95]// 00000000450C: D3F3005C 0D73C592
	buffer_load_dwordx4 a[56:59], v37, s[24:27], 0 offen offset:2048// 000000004514: E05C1800 80863825
	v_mfma_f32_16x16x32_fp8_fp8 v[92:95], a[148:149], v[228:229], v[92:95]// 00000000451C: D3F3005C 0D73C994
	v_mfma_f32_16x16x32_fp8_fp8 v[92:95], a[150:151], v[230:231], v[92:95]// 000000004524: D3F3005C 0D73CD96
	ds_read_b128 v[200:203], v2 offset:1152                    // 00000000452C: D9FE0480 C8000002
	v_mfma_f32_16x16x32_fp8_fp8 v[92:95], a[152:153], v[232:233], v[92:95]// 000000004534: D3F3005C 0D73D198
	v_mfma_f32_16x16x32_fp8_fp8 v[92:95], a[154:155], v[234:235], v[92:95]// 00000000453C: D3F3005C 0D73D59A
	buffer_load_dwordx4 a[60:63], v37, s[24:27], 0 offen offset:3072// 000000004544: E05C1C00 80863C25
	v_mfma_f32_16x16x32_fp8_fp8 v[92:95], a[156:157], v[236:237], v[92:95]// 00000000454C: D3F3005C 0D73D99C
	v_mfma_f32_16x16x32_fp8_fp8 v[92:95], a[158:159], v[238:239], v[92:95]// 000000004554: D3F3005C 0D73DD9E
	ds_read_b128 v[204:207], v2 offset:1216                    // 00000000455C: D9FE04C0 CC000002
	s_waitcnt vmcnt(20)                                        // 000000004564: BF8C4F74
	v_mfma_f32_16x16x32_fp8_fp8 v[96:99], a[160:161], v[208:209], v[96:99]// 000000004568: D3F30060 0D83A1A0
	v_mfma_f32_16x16x32_fp8_fp8 v[96:99], a[162:163], v[210:211], v[96:99]// 000000004570: D3F30060 0D83A5A2
	buffer_load_dwordx4 a[64:67], v38, s[24:27], 0 offen       // 000000004578: E05C1000 80864026
	v_mfma_f32_16x16x32_fp8_fp8 v[96:99], a[164:165], v[212:213], v[96:99]// 000000004580: D3F30060 0D83A9A4
	v_mfma_f32_16x16x32_fp8_fp8 v[96:99], a[166:167], v[214:215], v[96:99]// 000000004588: D3F30060 0D83ADA6
	v_mfma_f32_16x16x32_fp8_fp8 v[96:99], a[168:169], v[216:217], v[96:99]// 000000004590: D3F30060 0D83B1A8
	v_mfma_f32_16x16x32_fp8_fp8 v[96:99], a[170:171], v[218:219], v[96:99]// 000000004598: D3F30060 0D83B5AA
	buffer_load_dwordx4 a[68:71], v38, s[24:27], 0 offen offset:1024// 0000000045A0: E05C1400 80864426
	v_mfma_f32_16x16x32_fp8_fp8 v[96:99], a[172:173], v[220:221], v[96:99]// 0000000045A8: D3F30060 0D83B9AC
	v_mfma_f32_16x16x32_fp8_fp8 v[96:99], a[174:175], v[222:223], v[96:99]// 0000000045B0: D3F30060 0D83BDAE
	v_mfma_f32_16x16x32_fp8_fp8 v[100:103], a[160:161], v[224:225], v[100:103]// 0000000045B8: D3F30064 0D93C1A0
	v_mfma_f32_16x16x32_fp8_fp8 v[100:103], a[162:163], v[226:227], v[100:103]// 0000000045C0: D3F30064 0D93C5A2
	buffer_load_dwordx4 a[72:75], v38, s[24:27], 0 offen offset:2048// 0000000045C8: E05C1800 80864826
	v_mfma_f32_16x16x32_fp8_fp8 v[100:103], a[164:165], v[228:229], v[100:103]// 0000000045D0: D3F30064 0D93C9A4
	v_mfma_f32_16x16x32_fp8_fp8 v[100:103], a[166:167], v[230:231], v[100:103]// 0000000045D8: D3F30064 0D93CDA6
	v_mfma_f32_16x16x32_fp8_fp8 v[100:103], a[168:169], v[232:233], v[100:103]// 0000000045E0: D3F30064 0D93D1A8
	v_mfma_f32_16x16x32_fp8_fp8 v[100:103], a[170:171], v[234:235], v[100:103]// 0000000045E8: D3F30064 0D93D5AA
	buffer_load_dwordx4 a[76:79], v38, s[24:27], 0 offen offset:3072// 0000000045F0: E05C1C00 80864C26
	v_mfma_f32_16x16x32_fp8_fp8 v[100:103], a[172:173], v[236:237], v[100:103]// 0000000045F8: D3F30064 0D93D9AC
	v_mfma_f32_16x16x32_fp8_fp8 v[100:103], a[174:175], v[238:239], v[100:103]// 000000004600: D3F30064 0D93DDAE
	s_waitcnt vmcnt(20)                                        // 000000004608: BF8C4F74
	v_mfma_f32_16x16x32_fp8_fp8 v[104:107], a[176:177], v[208:209], v[104:107]// 00000000460C: D3F30068 0DA3A1B0
	v_mfma_f32_16x16x32_fp8_fp8 v[104:107], a[178:179], v[210:211], v[104:107]// 000000004614: D3F30068 0DA3A5B2
	buffer_load_dwordx4 a[80:83], v39, s[24:27], 0 offen       // 00000000461C: E05C1000 80865027
	v_mfma_f32_16x16x32_fp8_fp8 v[104:107], a[180:181], v[212:213], v[104:107]// 000000004624: D3F30068 0DA3A9B4
	v_mfma_f32_16x16x32_fp8_fp8 v[104:107], a[182:183], v[214:215], v[104:107]// 00000000462C: D3F30068 0DA3ADB6
	v_mfma_f32_16x16x32_fp8_fp8 v[104:107], a[184:185], v[216:217], v[104:107]// 000000004634: D3F30068 0DA3B1B8
	v_mfma_f32_16x16x32_fp8_fp8 v[104:107], a[186:187], v[218:219], v[104:107]// 00000000463C: D3F30068 0DA3B5BA
	buffer_load_dwordx4 a[84:87], v39, s[24:27], 0 offen offset:1024// 000000004644: E05C1400 80865427
	v_mfma_f32_16x16x32_fp8_fp8 v[104:107], a[188:189], v[220:221], v[104:107]// 00000000464C: D3F30068 0DA3B9BC
	v_mfma_f32_16x16x32_fp8_fp8 v[104:107], a[190:191], v[222:223], v[104:107]// 000000004654: D3F30068 0DA3BDBE
	v_mfma_f32_16x16x32_fp8_fp8 v[108:111], a[176:177], v[224:225], v[108:111]// 00000000465C: D3F3006C 0DB3C1B0
	v_mfma_f32_16x16x32_fp8_fp8 v[108:111], a[178:179], v[226:227], v[108:111]// 000000004664: D3F3006C 0DB3C5B2
	buffer_load_dwordx4 a[88:91], v39, s[24:27], 0 offen offset:2048// 00000000466C: E05C1800 80865827
	v_mfma_f32_16x16x32_fp8_fp8 v[108:111], a[180:181], v[228:229], v[108:111]// 000000004674: D3F3006C 0DB3C9B4
	v_mfma_f32_16x16x32_fp8_fp8 v[108:111], a[182:183], v[230:231], v[108:111]// 00000000467C: D3F3006C 0DB3CDB6
	v_mfma_f32_16x16x32_fp8_fp8 v[108:111], a[184:185], v[232:233], v[108:111]// 000000004684: D3F3006C 0DB3D1B8
	v_mfma_f32_16x16x32_fp8_fp8 v[108:111], a[186:187], v[234:235], v[108:111]// 00000000468C: D3F3006C 0DB3D5BA
	buffer_load_dwordx4 a[92:95], v39, s[24:27], 0 offen offset:3072// 000000004694: E05C1C00 80865C27
	v_mfma_f32_16x16x32_fp8_fp8 v[108:111], a[188:189], v[236:237], v[108:111]// 00000000469C: D3F3006C 0DB3D9BC
	v_mfma_f32_16x16x32_fp8_fp8 v[108:111], a[190:191], v[238:239], v[108:111]// 0000000046A4: D3F3006C 0DB3DDBE
	s_add_u32 s60, 0x200, s80                                  // 0000000046AC: 803C50FF 00000200
	s_cmp_lt_u32 s60, s81                                      // 0000000046B4: BF0A513C
	s_cselect_b32 s57, s57, 0                                  // 0000000046B8: 85398039
	s_add_u32 s60, 0x200, s80                                  // 0000000046BC: 803C50FF 00000200
	s_cmp_lt_u32 s60, s81                                      // 0000000046C4: BF0A513C
	s_cselect_b32 s58, s58, 0                                  // 0000000046C8: 853A803A
	s_add_u32 s20, s57, s20                                    // 0000000046CC: 80141439
	s_addc_u32 s21, 0, s21                                     // 0000000046D0: 82151580
	s_add_u32 s24, s58, s24                                    // 0000000046D4: 8018183A
	s_addc_u32 s25, 0, s25                                     // 0000000046D8: 82191980
	s_add_u32 s92, s90, s92                                    // 0000000046DC: 805C5C5A
	s_addc_u32 s93, 0, s93                                     // 0000000046E0: 825D5D80
	s_addk_i32 s80, 0x100                                      // 0000000046E4: B7500100
	s_cmp_lt_i32 s80, s81                                      // 0000000046E8: BF045150
	s_cbranch_scc0 label_06FD                                  // 0000000046EC: BF840001
	s_branch label_02A4                                        // 0000000046F0: BF82FBA7

00000000000046f4 <label_06FD>:
	s_mov_b32 s36, -1                                          // 0000000046F4: BEA400C1
	s_mov_b32 s37, -1                                          // 0000000046F8: BEA500C1
	s_mov_b64 s[60:61], 0                                      // 0000000046FC: BEBC0180
	s_cmp_lt_u32 s82, s66                                      // 000000004700: BF0A4252
	s_cselect_b64 s[20:21], s[36:37], s[60:61]                 // 000000004704: 85943C24
	s_cmp_lt_u32 s83, s66                                      // 000000004708: BF0A4253
	s_cselect_b64 s[22:23], s[36:37], s[60:61]                 // 00000000470C: 85963C24
	s_cmp_lt_u32 s84, s66                                      // 000000004710: BF0A4254
	s_cselect_b64 s[24:25], s[36:37], s[60:61]                 // 000000004714: 85983C24
	s_cmp_lt_u32 s85, s66                                      // 000000004718: BF0A4255
	s_cselect_b64 s[26:27], s[36:37], s[60:61]                 // 00000000471C: 859A3C24
	s_cmp_lt_u32 s86, s66                                      // 000000004720: BF0A4256
	s_cselect_b64 s[28:29], s[36:37], s[60:61]                 // 000000004724: 859C3C24
	s_cmp_lt_u32 s87, s66                                      // 000000004728: BF0A4257
	s_cselect_b64 s[30:31], s[36:37], s[60:61]                 // 00000000472C: 859E3C24
	s_cmp_lt_u32 s88, s66                                      // 000000004730: BF0A4258
	s_cselect_b64 s[32:33], s[36:37], s[60:61]                 // 000000004734: 85A03C24
	s_cmp_lt_u32 s89, s66                                      // 000000004738: BF0A4259
	s_cselect_b64 s[34:35], s[36:37], s[60:61]                 // 00000000473C: 85A23C24
	v_mul_f32_e32 v128, v14, v128                              // 000000004740: 0B01010E
	v_mul_f32_e32 v129, v14, v129                              // 000000004744: 0B03030E
	v_mul_f32_e32 v130, v14, v130                              // 000000004748: 0B05050E
	v_mul_f32_e32 v131, v14, v131                              // 00000000474C: 0B07070E
	v_mul_f32_dpp v128, v16, v128 row_newbcast:0 row_mask:0xf bank_mask:0xf// 000000004750: 0B0100FA FF015010
	v_mul_f32_dpp v129, v16, v129 row_newbcast:1 row_mask:0xf bank_mask:0xf// 000000004758: 0B0302FA FF015110
	v_mul_f32_dpp v130, v16, v130 row_newbcast:2 row_mask:0xf bank_mask:0xf// 000000004760: 0B0504FA FF015210
	v_mul_f32_dpp v131, v16, v131 row_newbcast:3 row_mask:0xf bank_mask:0xf// 000000004768: 0B0706FA FF015310
	v_mul_f32_e32 v132, v15, v132                              // 000000004770: 0B09090F
	v_mul_f32_e32 v133, v15, v133                              // 000000004774: 0B0B0B0F
	v_mul_f32_e32 v134, v15, v134                              // 000000004778: 0B0D0D0F
	v_mul_f32_e32 v135, v15, v135                              // 00000000477C: 0B0F0F0F
	v_mul_f32_dpp v132, v16, v132 row_newbcast:0 row_mask:0xf bank_mask:0xf// 000000004780: 0B0908FA FF015010
	v_mul_f32_dpp v133, v16, v133 row_newbcast:1 row_mask:0xf bank_mask:0xf// 000000004788: 0B0B0AFA FF015110
	v_mul_f32_dpp v134, v16, v134 row_newbcast:2 row_mask:0xf bank_mask:0xf// 000000004790: 0B0D0CFA FF015210
	v_mul_f32_dpp v135, v16, v135 row_newbcast:3 row_mask:0xf bank_mask:0xf// 000000004798: 0B0F0EFA FF015310
	v_mul_f32_e32 v136, v14, v136                              // 0000000047A0: 0B11110E
	v_mul_f32_e32 v137, v14, v137                              // 0000000047A4: 0B13130E
	v_mul_f32_e32 v138, v14, v138                              // 0000000047A8: 0B15150E
	v_mul_f32_e32 v139, v14, v139                              // 0000000047AC: 0B17170E
	v_mul_f32_dpp v136, v16, v136 row_newbcast:4 row_mask:0xf bank_mask:0xf// 0000000047B0: 0B1110FA FF015410
	v_mul_f32_dpp v137, v16, v137 row_newbcast:5 row_mask:0xf bank_mask:0xf// 0000000047B8: 0B1312FA FF015510
	v_mul_f32_dpp v138, v16, v138 row_newbcast:6 row_mask:0xf bank_mask:0xf// 0000000047C0: 0B1514FA FF015610
	v_mul_f32_dpp v139, v16, v139 row_newbcast:7 row_mask:0xf bank_mask:0xf// 0000000047C8: 0B1716FA FF015710
	v_mul_f32_e32 v140, v15, v140                              // 0000000047D0: 0B19190F
	v_mul_f32_e32 v141, v15, v141                              // 0000000047D4: 0B1B1B0F
	v_mul_f32_e32 v142, v15, v142                              // 0000000047D8: 0B1D1D0F
	v_mul_f32_e32 v143, v15, v143                              // 0000000047DC: 0B1F1F0F
	v_mul_f32_dpp v140, v16, v140 row_newbcast:4 row_mask:0xf bank_mask:0xf// 0000000047E0: 0B1918FA FF015410
	v_mul_f32_dpp v141, v16, v141 row_newbcast:5 row_mask:0xf bank_mask:0xf// 0000000047E8: 0B1B1AFA FF015510
	v_mul_f32_dpp v142, v16, v142 row_newbcast:6 row_mask:0xf bank_mask:0xf// 0000000047F0: 0B1D1CFA FF015610
	v_mul_f32_dpp v143, v16, v143 row_newbcast:7 row_mask:0xf bank_mask:0xf// 0000000047F8: 0B1F1EFA FF015710
	v_mul_f32_e32 v144, v14, v144                              // 000000004800: 0B21210E
	v_mul_f32_e32 v145, v14, v145                              // 000000004804: 0B23230E
	v_mul_f32_e32 v146, v14, v146                              // 000000004808: 0B25250E
	v_mul_f32_e32 v147, v14, v147                              // 00000000480C: 0B27270E
	v_mul_f32_dpp v144, v16, v144 row_newbcast:8 row_mask:0xf bank_mask:0xf// 000000004810: 0B2120FA FF015810
	v_mul_f32_dpp v145, v16, v145 row_newbcast:9 row_mask:0xf bank_mask:0xf// 000000004818: 0B2322FA FF015910
	v_mul_f32_dpp v146, v16, v146 row_newbcast:10 row_mask:0xf bank_mask:0xf// 000000004820: 0B2524FA FF015A10
	v_mul_f32_dpp v147, v16, v147 row_newbcast:11 row_mask:0xf bank_mask:0xf// 000000004828: 0B2726FA FF015B10
	v_mul_f32_e32 v148, v15, v148                              // 000000004830: 0B29290F
	v_mul_f32_e32 v149, v15, v149                              // 000000004834: 0B2B2B0F
	v_mul_f32_e32 v150, v15, v150                              // 000000004838: 0B2D2D0F
	v_mul_f32_e32 v151, v15, v151                              // 00000000483C: 0B2F2F0F
	v_mul_f32_dpp v148, v16, v148 row_newbcast:8 row_mask:0xf bank_mask:0xf// 000000004840: 0B2928FA FF015810
	v_mul_f32_dpp v149, v16, v149 row_newbcast:9 row_mask:0xf bank_mask:0xf// 000000004848: 0B2B2AFA FF015910
	v_mul_f32_dpp v150, v16, v150 row_newbcast:10 row_mask:0xf bank_mask:0xf// 000000004850: 0B2D2CFA FF015A10
	v_mul_f32_dpp v151, v16, v151 row_newbcast:11 row_mask:0xf bank_mask:0xf// 000000004858: 0B2F2EFA FF015B10
	v_mul_f32_e32 v152, v14, v152                              // 000000004860: 0B31310E
	v_mul_f32_e32 v153, v14, v153                              // 000000004864: 0B33330E
	v_mul_f32_e32 v154, v14, v154                              // 000000004868: 0B35350E
	v_mul_f32_e32 v155, v14, v155                              // 00000000486C: 0B37370E
	v_mul_f32_dpp v152, v16, v152 row_newbcast:12 row_mask:0xf bank_mask:0xf// 000000004870: 0B3130FA FF015C10
	v_mul_f32_dpp v153, v16, v153 row_newbcast:13 row_mask:0xf bank_mask:0xf// 000000004878: 0B3332FA FF015D10
	v_mul_f32_dpp v154, v16, v154 row_newbcast:14 row_mask:0xf bank_mask:0xf// 000000004880: 0B3534FA FF015E10
	v_mul_f32_dpp v155, v16, v155 row_newbcast:15 row_mask:0xf bank_mask:0xf// 000000004888: 0B3736FA FF015F10
	v_mul_f32_e32 v156, v15, v156                              // 000000004890: 0B39390F
	v_mul_f32_e32 v157, v15, v157                              // 000000004894: 0B3B3B0F
	v_mul_f32_e32 v158, v15, v158                              // 000000004898: 0B3D3D0F
	v_mul_f32_e32 v159, v15, v159                              // 00000000489C: 0B3F3F0F
	v_mul_f32_dpp v156, v16, v156 row_newbcast:12 row_mask:0xf bank_mask:0xf// 0000000048A0: 0B3938FA FF015C10
	v_mul_f32_dpp v157, v16, v157 row_newbcast:13 row_mask:0xf bank_mask:0xf// 0000000048A8: 0B3B3AFA FF015D10
	v_mul_f32_dpp v158, v16, v158 row_newbcast:14 row_mask:0xf bank_mask:0xf// 0000000048B0: 0B3D3CFA FF015E10
	v_mul_f32_dpp v159, v16, v159 row_newbcast:15 row_mask:0xf bank_mask:0xf// 0000000048B8: 0B3F3EFA FF015F10
	v_mul_f32_e32 v160, v14, v160                              // 0000000048C0: 0B41410E
	v_mul_f32_e32 v161, v14, v161                              // 0000000048C4: 0B43430E
	v_mul_f32_e32 v162, v14, v162                              // 0000000048C8: 0B45450E
	v_mul_f32_e32 v163, v14, v163                              // 0000000048CC: 0B47470E
	v_mul_f32_dpp v160, v17, v160 row_newbcast:0 row_mask:0xf bank_mask:0xf// 0000000048D0: 0B4140FA FF015011
	v_mul_f32_dpp v161, v17, v161 row_newbcast:1 row_mask:0xf bank_mask:0xf// 0000000048D8: 0B4342FA FF015111
	v_mul_f32_dpp v162, v17, v162 row_newbcast:2 row_mask:0xf bank_mask:0xf// 0000000048E0: 0B4544FA FF015211
	v_mul_f32_dpp v163, v17, v163 row_newbcast:3 row_mask:0xf bank_mask:0xf// 0000000048E8: 0B4746FA FF015311
	v_mul_f32_e32 v164, v15, v164                              // 0000000048F0: 0B49490F
	v_mul_f32_e32 v165, v15, v165                              // 0000000048F4: 0B4B4B0F
	v_mul_f32_e32 v166, v15, v166                              // 0000000048F8: 0B4D4D0F
	v_mul_f32_e32 v167, v15, v167                              // 0000000048FC: 0B4F4F0F
	v_mul_f32_dpp v164, v17, v164 row_newbcast:0 row_mask:0xf bank_mask:0xf// 000000004900: 0B4948FA FF015011
	v_mul_f32_dpp v165, v17, v165 row_newbcast:1 row_mask:0xf bank_mask:0xf// 000000004908: 0B4B4AFA FF015111
	v_mul_f32_dpp v166, v17, v166 row_newbcast:2 row_mask:0xf bank_mask:0xf// 000000004910: 0B4D4CFA FF015211
	v_mul_f32_dpp v167, v17, v167 row_newbcast:3 row_mask:0xf bank_mask:0xf// 000000004918: 0B4F4EFA FF015311
	v_mul_f32_e32 v168, v14, v168                              // 000000004920: 0B51510E
	v_mul_f32_e32 v169, v14, v169                              // 000000004924: 0B53530E
	v_mul_f32_e32 v170, v14, v170                              // 000000004928: 0B55550E
	v_mul_f32_e32 v171, v14, v171                              // 00000000492C: 0B57570E
	v_mul_f32_dpp v168, v17, v168 row_newbcast:4 row_mask:0xf bank_mask:0xf// 000000004930: 0B5150FA FF015411
	v_mul_f32_dpp v169, v17, v169 row_newbcast:5 row_mask:0xf bank_mask:0xf// 000000004938: 0B5352FA FF015511
	v_mul_f32_dpp v170, v17, v170 row_newbcast:6 row_mask:0xf bank_mask:0xf// 000000004940: 0B5554FA FF015611
	v_mul_f32_dpp v171, v17, v171 row_newbcast:7 row_mask:0xf bank_mask:0xf// 000000004948: 0B5756FA FF015711
	v_mul_f32_e32 v172, v15, v172                              // 000000004950: 0B59590F
	v_mul_f32_e32 v173, v15, v173                              // 000000004954: 0B5B5B0F
	v_mul_f32_e32 v174, v15, v174                              // 000000004958: 0B5D5D0F
	v_mul_f32_e32 v175, v15, v175                              // 00000000495C: 0B5F5F0F
	v_mul_f32_dpp v172, v17, v172 row_newbcast:4 row_mask:0xf bank_mask:0xf// 000000004960: 0B5958FA FF015411
	v_mul_f32_dpp v173, v17, v173 row_newbcast:5 row_mask:0xf bank_mask:0xf// 000000004968: 0B5B5AFA FF015511
	v_mul_f32_dpp v174, v17, v174 row_newbcast:6 row_mask:0xf bank_mask:0xf// 000000004970: 0B5D5CFA FF015611
	v_mul_f32_dpp v175, v17, v175 row_newbcast:7 row_mask:0xf bank_mask:0xf// 000000004978: 0B5F5EFA FF015711
	v_mul_f32_e32 v64, v14, v64                                // 000000004980: 0A80810E
	v_mul_f32_e32 v65, v14, v65                                // 000000004984: 0A82830E
	v_mul_f32_e32 v66, v14, v66                                // 000000004988: 0A84850E
	v_mul_f32_e32 v67, v14, v67                                // 00000000498C: 0A86870E
	v_mul_f32_dpp v64, v48, v64 row_newbcast:0 row_mask:0xf bank_mask:0xf// 000000004990: 0A8080FA FF015030
	v_mul_f32_dpp v65, v48, v65 row_newbcast:1 row_mask:0xf bank_mask:0xf// 000000004998: 0A8282FA FF015130
	v_mul_f32_dpp v66, v48, v66 row_newbcast:2 row_mask:0xf bank_mask:0xf// 0000000049A0: 0A8484FA FF015230
	v_mul_f32_dpp v67, v48, v67 row_newbcast:3 row_mask:0xf bank_mask:0xf// 0000000049A8: 0A8686FA FF015330
	v_mul_f32_e32 v68, v15, v68                                // 0000000049B0: 0A88890F
	v_mul_f32_e32 v69, v15, v69                                // 0000000049B4: 0A8A8B0F
	v_mul_f32_e32 v70, v15, v70                                // 0000000049B8: 0A8C8D0F
	v_mul_f32_e32 v71, v15, v71                                // 0000000049BC: 0A8E8F0F
	v_mul_f32_dpp v68, v48, v68 row_newbcast:0 row_mask:0xf bank_mask:0xf// 0000000049C0: 0A8888FA FF015030
	v_mul_f32_dpp v69, v48, v69 row_newbcast:1 row_mask:0xf bank_mask:0xf// 0000000049C8: 0A8A8AFA FF015130
	v_mul_f32_dpp v70, v48, v70 row_newbcast:2 row_mask:0xf bank_mask:0xf// 0000000049D0: 0A8C8CFA FF015230
	v_mul_f32_dpp v71, v48, v71 row_newbcast:3 row_mask:0xf bank_mask:0xf// 0000000049D8: 0A8E8EFA FF015330
	v_mul_f32_e32 v72, v14, v72                                // 0000000049E0: 0A90910E
	v_mul_f32_e32 v73, v14, v73                                // 0000000049E4: 0A92930E
	v_mul_f32_e32 v74, v14, v74                                // 0000000049E8: 0A94950E
	v_mul_f32_e32 v75, v14, v75                                // 0000000049EC: 0A96970E
	v_mul_f32_dpp v72, v48, v72 row_newbcast:4 row_mask:0xf bank_mask:0xf// 0000000049F0: 0A9090FA FF015430
	v_mul_f32_dpp v73, v48, v73 row_newbcast:5 row_mask:0xf bank_mask:0xf// 0000000049F8: 0A9292FA FF015530
	v_mul_f32_dpp v74, v48, v74 row_newbcast:6 row_mask:0xf bank_mask:0xf// 000000004A00: 0A9494FA FF015630
	v_mul_f32_dpp v75, v48, v75 row_newbcast:7 row_mask:0xf bank_mask:0xf// 000000004A08: 0A9696FA FF015730
	v_mul_f32_e32 v76, v15, v76                                // 000000004A10: 0A98990F
	v_mul_f32_e32 v77, v15, v77                                // 000000004A14: 0A9A9B0F
	v_mul_f32_e32 v78, v15, v78                                // 000000004A18: 0A9C9D0F
	v_mul_f32_e32 v79, v15, v79                                // 000000004A1C: 0A9E9F0F
	v_mul_f32_dpp v76, v48, v76 row_newbcast:4 row_mask:0xf bank_mask:0xf// 000000004A20: 0A9898FA FF015430
	v_mul_f32_dpp v77, v48, v77 row_newbcast:5 row_mask:0xf bank_mask:0xf// 000000004A28: 0A9A9AFA FF015530
	v_mul_f32_dpp v78, v48, v78 row_newbcast:6 row_mask:0xf bank_mask:0xf// 000000004A30: 0A9C9CFA FF015630
	v_mul_f32_dpp v79, v48, v79 row_newbcast:7 row_mask:0xf bank_mask:0xf// 000000004A38: 0A9E9EFA FF015730
	v_mul_f32_e32 v80, v14, v80                                // 000000004A40: 0AA0A10E
	v_mul_f32_e32 v81, v14, v81                                // 000000004A44: 0AA2A30E
	v_mul_f32_e32 v82, v14, v82                                // 000000004A48: 0AA4A50E
	v_mul_f32_e32 v83, v14, v83                                // 000000004A4C: 0AA6A70E
	v_mul_f32_dpp v80, v48, v80 row_newbcast:8 row_mask:0xf bank_mask:0xf// 000000004A50: 0AA0A0FA FF015830
	v_mul_f32_dpp v81, v48, v81 row_newbcast:9 row_mask:0xf bank_mask:0xf// 000000004A58: 0AA2A2FA FF015930
	v_mul_f32_dpp v82, v48, v82 row_newbcast:10 row_mask:0xf bank_mask:0xf// 000000004A60: 0AA4A4FA FF015A30
	v_mul_f32_dpp v83, v48, v83 row_newbcast:11 row_mask:0xf bank_mask:0xf// 000000004A68: 0AA6A6FA FF015B30
	v_mul_f32_e32 v84, v15, v84                                // 000000004A70: 0AA8A90F
	v_mul_f32_e32 v85, v15, v85                                // 000000004A74: 0AAAAB0F
	v_mul_f32_e32 v86, v15, v86                                // 000000004A78: 0AACAD0F
	v_mul_f32_e32 v87, v15, v87                                // 000000004A7C: 0AAEAF0F
	v_mul_f32_dpp v84, v48, v84 row_newbcast:8 row_mask:0xf bank_mask:0xf// 000000004A80: 0AA8A8FA FF015830
	v_mul_f32_dpp v85, v48, v85 row_newbcast:9 row_mask:0xf bank_mask:0xf// 000000004A88: 0AAAAAFA FF015930
	v_mul_f32_dpp v86, v48, v86 row_newbcast:10 row_mask:0xf bank_mask:0xf// 000000004A90: 0AACACFA FF015A30
	v_mul_f32_dpp v87, v48, v87 row_newbcast:11 row_mask:0xf bank_mask:0xf// 000000004A98: 0AAEAEFA FF015B30
	v_mul_f32_e32 v88, v14, v88                                // 000000004AA0: 0AB0B10E
	v_mul_f32_e32 v89, v14, v89                                // 000000004AA4: 0AB2B30E
	v_mul_f32_e32 v90, v14, v90                                // 000000004AA8: 0AB4B50E
	v_mul_f32_e32 v91, v14, v91                                // 000000004AAC: 0AB6B70E
	v_mul_f32_dpp v88, v48, v88 row_newbcast:12 row_mask:0xf bank_mask:0xf// 000000004AB0: 0AB0B0FA FF015C30
	v_mul_f32_dpp v89, v48, v89 row_newbcast:13 row_mask:0xf bank_mask:0xf// 000000004AB8: 0AB2B2FA FF015D30
	v_mul_f32_dpp v90, v48, v90 row_newbcast:14 row_mask:0xf bank_mask:0xf// 000000004AC0: 0AB4B4FA FF015E30
	v_mul_f32_dpp v91, v48, v91 row_newbcast:15 row_mask:0xf bank_mask:0xf// 000000004AC8: 0AB6B6FA FF015F30
	v_mul_f32_e32 v92, v15, v92                                // 000000004AD0: 0AB8B90F
	v_mul_f32_e32 v93, v15, v93                                // 000000004AD4: 0ABABB0F
	v_mul_f32_e32 v94, v15, v94                                // 000000004AD8: 0ABCBD0F
	v_mul_f32_e32 v95, v15, v95                                // 000000004ADC: 0ABEBF0F
	v_mul_f32_dpp v92, v48, v92 row_newbcast:12 row_mask:0xf bank_mask:0xf// 000000004AE0: 0AB8B8FA FF015C30
	v_mul_f32_dpp v93, v48, v93 row_newbcast:13 row_mask:0xf bank_mask:0xf// 000000004AE8: 0ABABAFA FF015D30
	v_mul_f32_dpp v94, v48, v94 row_newbcast:14 row_mask:0xf bank_mask:0xf// 000000004AF0: 0ABCBCFA FF015E30
	v_mul_f32_dpp v95, v48, v95 row_newbcast:15 row_mask:0xf bank_mask:0xf// 000000004AF8: 0ABEBEFA FF015F30
	v_mul_f32_e32 v96, v14, v96                                // 000000004B00: 0AC0C10E
	v_mul_f32_e32 v97, v14, v97                                // 000000004B04: 0AC2C30E
	v_mul_f32_e32 v98, v14, v98                                // 000000004B08: 0AC4C50E
	v_mul_f32_e32 v99, v14, v99                                // 000000004B0C: 0AC6C70E
	v_mul_f32_dpp v96, v49, v96 row_newbcast:0 row_mask:0xf bank_mask:0xf// 000000004B10: 0AC0C0FA FF015031
	v_mul_f32_dpp v97, v49, v97 row_newbcast:1 row_mask:0xf bank_mask:0xf// 000000004B18: 0AC2C2FA FF015131
	v_mul_f32_dpp v98, v49, v98 row_newbcast:2 row_mask:0xf bank_mask:0xf// 000000004B20: 0AC4C4FA FF015231
	v_mul_f32_dpp v99, v49, v99 row_newbcast:3 row_mask:0xf bank_mask:0xf// 000000004B28: 0AC6C6FA FF015331
	v_mul_f32_e32 v100, v15, v100                              // 000000004B30: 0AC8C90F
	v_mul_f32_e32 v101, v15, v101                              // 000000004B34: 0ACACB0F
	v_mul_f32_e32 v102, v15, v102                              // 000000004B38: 0ACCCD0F
	v_mul_f32_e32 v103, v15, v103                              // 000000004B3C: 0ACECF0F
	v_mul_f32_dpp v100, v49, v100 row_newbcast:0 row_mask:0xf bank_mask:0xf// 000000004B40: 0AC8C8FA FF015031
	v_mul_f32_dpp v101, v49, v101 row_newbcast:1 row_mask:0xf bank_mask:0xf// 000000004B48: 0ACACAFA FF015131
	v_mul_f32_dpp v102, v49, v102 row_newbcast:2 row_mask:0xf bank_mask:0xf// 000000004B50: 0ACCCCFA FF015231
	v_mul_f32_dpp v103, v49, v103 row_newbcast:3 row_mask:0xf bank_mask:0xf// 000000004B58: 0ACECEFA FF015331
	v_mul_f32_e32 v104, v14, v104                              // 000000004B60: 0AD0D10E
	v_mul_f32_e32 v105, v14, v105                              // 000000004B64: 0AD2D30E
	v_mul_f32_e32 v106, v14, v106                              // 000000004B68: 0AD4D50E
	v_mul_f32_e32 v107, v14, v107                              // 000000004B6C: 0AD6D70E
	v_mul_f32_dpp v104, v49, v104 row_newbcast:4 row_mask:0xf bank_mask:0xf// 000000004B70: 0AD0D0FA FF015431
	v_mul_f32_dpp v105, v49, v105 row_newbcast:5 row_mask:0xf bank_mask:0xf// 000000004B78: 0AD2D2FA FF015531
	v_mul_f32_dpp v106, v49, v106 row_newbcast:6 row_mask:0xf bank_mask:0xf// 000000004B80: 0AD4D4FA FF015631
	v_mul_f32_dpp v107, v49, v107 row_newbcast:7 row_mask:0xf bank_mask:0xf// 000000004B88: 0AD6D6FA FF015731
	v_mul_f32_e32 v108, v15, v108                              // 000000004B90: 0AD8D90F
	v_mul_f32_e32 v109, v15, v109                              // 000000004B94: 0ADADB0F
	v_mul_f32_e32 v110, v15, v110                              // 000000004B98: 0ADCDD0F
	v_mul_f32_e32 v111, v15, v111                              // 000000004B9C: 0ADEDF0F
	v_mul_f32_dpp v108, v49, v108 row_newbcast:4 row_mask:0xf bank_mask:0xf// 000000004BA0: 0AD8D8FA FF015431
	v_mul_f32_dpp v109, v49, v109 row_newbcast:5 row_mask:0xf bank_mask:0xf// 000000004BA8: 0ADADAFA FF015531
	v_mul_f32_dpp v110, v49, v110 row_newbcast:6 row_mask:0xf bank_mask:0xf// 000000004BB0: 0ADCDCFA FF015631
	v_mul_f32_dpp v111, v49, v111 row_newbcast:7 row_mask:0xf bank_mask:0xf// 000000004BB8: 0ADEDEFA FF015731
	s_waitcnt vmcnt(20)                                        // 000000004BC0: BF8C4F74
	buffer_load_dwordx4 a[0:3], v40, s[12:15], 0 offen         // 000000004BC4: E05C1000 80830028
	v_mul_f32_e64 v50, -v128, s6                               // 000000004BCC: D1050032 20000D80
	v_mul_f32_e64 v51, -v129, s6                               // 000000004BD4: D1050033 20000D81
	v_mul_f32_e64 v52, -v130, s6                               // 000000004BDC: D1050034 20000D82
	v_mul_f32_e64 v53, -v131, s6                               // 000000004BE4: D1050035 20000D83
	v_exp_f32_e32 v50, v50                                     // 000000004BEC: 7E644132
	v_exp_f32_e32 v51, v51                                     // 000000004BF0: 7E664133
	v_exp_f32_e32 v52, v52                                     // 000000004BF4: 7E684134
	v_exp_f32_e32 v53, v53                                     // 000000004BF8: 7E6A4135
	buffer_load_dwordx4 a[4:7], v41, s[12:15], 0 offen         // 000000004BFC: E05C1000 80830429
	v_add_f32_e64 v50, v50, 1.0                                // 000000004C04: D1010032 0001E532
	v_add_f32_e64 v51, v51, 1.0                                // 000000004C0C: D1010033 0001E533
	v_add_f32_e64 v52, v52, 1.0                                // 000000004C14: D1010034 0001E534
	v_add_f32_e64 v53, v53, 1.0                                // 000000004C1C: D1010035 0001E535
	v_rcp_f32_e32 v50, v50                                     // 000000004C24: 7E644532
	v_rcp_f32_e32 v51, v51                                     // 000000004C28: 7E664533
	v_rcp_f32_e32 v52, v52                                     // 000000004C2C: 7E684534
	v_rcp_f32_e32 v53, v53                                     // 000000004C30: 7E6A4535
	v_mul_f32_e32 v128, v128, v50                              // 000000004C34: 0B006580
	v_mul_f32_e32 v129, v129, v51                              // 000000004C38: 0B026781
	v_mul_f32_e32 v130, v130, v52                              // 000000004C3C: 0B046982
	v_mul_f32_e32 v131, v131, v53                              // 000000004C40: 0B066B83
	v_mul_f32_e32 v128, v128, v64                              // 000000004C44: 0B008180
	v_mul_f32_e32 v129, v129, v65                              // 000000004C48: 0B028381
	v_mul_f32_e32 v130, v130, v66                              // 000000004C4C: 0B048582
	v_mul_f32_e32 v131, v131, v67                              // 000000004C50: 0B068783
	buffer_load_dwordx4 a[8:11], v42, s[12:15], 0 offen        // 000000004C54: E05C1000 8083082A
	v_mul_f32_e64 v50, -v132, s6                               // 000000004C5C: D1050032 20000D84
	v_mul_f32_e64 v51, -v133, s6                               // 000000004C64: D1050033 20000D85
	v_mul_f32_e64 v52, -v134, s6                               // 000000004C6C: D1050034 20000D86
	v_mul_f32_e64 v53, -v135, s6                               // 000000004C74: D1050035 20000D87
	v_exp_f32_e32 v50, v50                                     // 000000004C7C: 7E644132
	v_exp_f32_e32 v51, v51                                     // 000000004C80: 7E664133
	v_exp_f32_e32 v52, v52                                     // 000000004C84: 7E684134
	v_exp_f32_e32 v53, v53                                     // 000000004C88: 7E6A4135
	buffer_load_dwordx4 a[12:15], v43, s[12:15], 0 offen       // 000000004C8C: E05C1000 80830C2B
	s_add_u32 s12, s78, s12                                    // 000000004C94: 800C0C4E
	s_addc_u32 s13, 0, s13                                     // 000000004C98: 820D0D80
	v_add_f32_e64 v50, v50, 1.0                                // 000000004C9C: D1010032 0001E532
	v_add_f32_e64 v51, v51, 1.0                                // 000000004CA4: D1010033 0001E533
	v_add_f32_e64 v52, v52, 1.0                                // 000000004CAC: D1010034 0001E534
	v_add_f32_e64 v53, v53, 1.0                                // 000000004CB4: D1010035 0001E535
	v_rcp_f32_e32 v50, v50                                     // 000000004CBC: 7E644532
	v_rcp_f32_e32 v51, v51                                     // 000000004CC0: 7E664533
	v_rcp_f32_e32 v52, v52                                     // 000000004CC4: 7E684534
	v_rcp_f32_e32 v53, v53                                     // 000000004CC8: 7E6A4535
	v_mul_f32_e32 v132, v132, v50                              // 000000004CCC: 0B086584
	v_mul_f32_e32 v133, v133, v51                              // 000000004CD0: 0B0A6785
	v_mul_f32_e32 v134, v134, v52                              // 000000004CD4: 0B0C6986
	v_mul_f32_e32 v135, v135, v53                              // 000000004CD8: 0B0E6B87
	v_mul_f32_e32 v132, v132, v68                              // 000000004CDC: 0B088984
	v_mul_f32_e32 v133, v133, v69                              // 000000004CE0: 0B0A8B85
	v_mul_f32_e32 v134, v134, v70                              // 000000004CE4: 0B0C8D86
	v_mul_f32_e32 v135, v135, v71                              // 000000004CE8: 0B0E8F87
	s_waitcnt vmcnt(20)                                        // 000000004CEC: BF8C4F74
	buffer_load_dwordx4 a[16:19], v40, s[12:15], 0 offen       // 000000004CF0: E05C1000 80831028
	v_mul_f32_e64 v50, -v136, s6                               // 000000004CF8: D1050032 20000D88
	v_mul_f32_e64 v51, -v137, s6                               // 000000004D00: D1050033 20000D89
	v_mul_f32_e64 v52, -v138, s6                               // 000000004D08: D1050034 20000D8A
	v_mul_f32_e64 v53, -v139, s6                               // 000000004D10: D1050035 20000D8B
	v_exp_f32_e32 v50, v50                                     // 000000004D18: 7E644132
	v_exp_f32_e32 v51, v51                                     // 000000004D1C: 7E664133
	v_exp_f32_e32 v52, v52                                     // 000000004D20: 7E684134
	v_exp_f32_e32 v53, v53                                     // 000000004D24: 7E6A4135
	buffer_load_dwordx4 a[20:23], v41, s[12:15], 0 offen       // 000000004D28: E05C1000 80831429
	v_add_f32_e64 v50, v50, 1.0                                // 000000004D30: D1010032 0001E532
	v_add_f32_e64 v51, v51, 1.0                                // 000000004D38: D1010033 0001E533
	v_add_f32_e64 v52, v52, 1.0                                // 000000004D40: D1010034 0001E534
	v_add_f32_e64 v53, v53, 1.0                                // 000000004D48: D1010035 0001E535
	v_rcp_f32_e32 v50, v50                                     // 000000004D50: 7E644532
	v_rcp_f32_e32 v51, v51                                     // 000000004D54: 7E664533
	v_rcp_f32_e32 v52, v52                                     // 000000004D58: 7E684534
	v_rcp_f32_e32 v53, v53                                     // 000000004D5C: 7E6A4535
	v_mul_f32_e32 v136, v136, v50                              // 000000004D60: 0B106588
	v_mul_f32_e32 v137, v137, v51                              // 000000004D64: 0B126789
	v_mul_f32_e32 v138, v138, v52                              // 000000004D68: 0B14698A
	v_mul_f32_e32 v139, v139, v53                              // 000000004D6C: 0B166B8B
	v_mul_f32_e32 v136, v136, v72                              // 000000004D70: 0B109188
	v_mul_f32_e32 v137, v137, v73                              // 000000004D74: 0B129389
	v_mul_f32_e32 v138, v138, v74                              // 000000004D78: 0B14958A
	v_mul_f32_e32 v139, v139, v75                              // 000000004D7C: 0B16978B
	buffer_load_dwordx4 a[24:27], v42, s[12:15], 0 offen       // 000000004D80: E05C1000 8083182A
	v_mul_f32_e64 v50, -v140, s6                               // 000000004D88: D1050032 20000D8C
	v_mul_f32_e64 v51, -v141, s6                               // 000000004D90: D1050033 20000D8D
	v_mul_f32_e64 v52, -v142, s6                               // 000000004D98: D1050034 20000D8E
	v_mul_f32_e64 v53, -v143, s6                               // 000000004DA0: D1050035 20000D8F
	v_exp_f32_e32 v50, v50                                     // 000000004DA8: 7E644132
	v_exp_f32_e32 v51, v51                                     // 000000004DAC: 7E664133
	v_exp_f32_e32 v52, v52                                     // 000000004DB0: 7E684134
	v_exp_f32_e32 v53, v53                                     // 000000004DB4: 7E6A4135
	buffer_load_dwordx4 a[28:31], v43, s[12:15], 0 offen       // 000000004DB8: E05C1000 80831C2B
	s_add_u32 s12, s78, s12                                    // 000000004DC0: 800C0C4E
	s_addc_u32 s13, 0, s13                                     // 000000004DC4: 820D0D80
	v_add_f32_e64 v50, v50, 1.0                                // 000000004DC8: D1010032 0001E532
	v_add_f32_e64 v51, v51, 1.0                                // 000000004DD0: D1010033 0001E533
	v_add_f32_e64 v52, v52, 1.0                                // 000000004DD8: D1010034 0001E534
	v_add_f32_e64 v53, v53, 1.0                                // 000000004DE0: D1010035 0001E535
	v_rcp_f32_e32 v50, v50                                     // 000000004DE8: 7E644532
	v_rcp_f32_e32 v51, v51                                     // 000000004DEC: 7E664533
	v_rcp_f32_e32 v52, v52                                     // 000000004DF0: 7E684534
	v_rcp_f32_e32 v53, v53                                     // 000000004DF4: 7E6A4535
	v_mul_f32_e32 v140, v140, v50                              // 000000004DF8: 0B18658C
	v_mul_f32_e32 v141, v141, v51                              // 000000004DFC: 0B1A678D
	v_mul_f32_e32 v142, v142, v52                              // 000000004E00: 0B1C698E
	v_mul_f32_e32 v143, v143, v53                              // 000000004E04: 0B1E6B8F
	v_mul_f32_e32 v140, v140, v76                              // 000000004E08: 0B18998C
	v_mul_f32_e32 v141, v141, v77                              // 000000004E0C: 0B1A9B8D
	v_mul_f32_e32 v142, v142, v78                              // 000000004E10: 0B1C9D8E
	v_mul_f32_e32 v143, v143, v79                              // 000000004E14: 0B1E9F8F
	s_waitcnt vmcnt(20)                                        // 000000004E18: BF8C4F74
	buffer_load_dwordx4 a[32:35], v40, s[12:15], 0 offen       // 000000004E1C: E05C1000 80832028
	v_mul_f32_e64 v50, -v144, s6                               // 000000004E24: D1050032 20000D90
	v_mul_f32_e64 v51, -v145, s6                               // 000000004E2C: D1050033 20000D91
	v_mul_f32_e64 v52, -v146, s6                               // 000000004E34: D1050034 20000D92
	v_mul_f32_e64 v53, -v147, s6                               // 000000004E3C: D1050035 20000D93
	v_exp_f32_e32 v50, v50                                     // 000000004E44: 7E644132
	v_exp_f32_e32 v51, v51                                     // 000000004E48: 7E664133
	v_exp_f32_e32 v52, v52                                     // 000000004E4C: 7E684134
	v_exp_f32_e32 v53, v53                                     // 000000004E50: 7E6A4135
	buffer_load_dwordx4 a[36:39], v41, s[12:15], 0 offen       // 000000004E54: E05C1000 80832429
	v_add_f32_e64 v50, v50, 1.0                                // 000000004E5C: D1010032 0001E532
	v_add_f32_e64 v51, v51, 1.0                                // 000000004E64: D1010033 0001E533
	v_add_f32_e64 v52, v52, 1.0                                // 000000004E6C: D1010034 0001E534
	v_add_f32_e64 v53, v53, 1.0                                // 000000004E74: D1010035 0001E535
	v_rcp_f32_e32 v50, v50                                     // 000000004E7C: 7E644532
	v_rcp_f32_e32 v51, v51                                     // 000000004E80: 7E664533
	v_rcp_f32_e32 v52, v52                                     // 000000004E84: 7E684534
	v_rcp_f32_e32 v53, v53                                     // 000000004E88: 7E6A4535
	v_mul_f32_e32 v144, v144, v50                              // 000000004E8C: 0B206590
	v_mul_f32_e32 v145, v145, v51                              // 000000004E90: 0B226791
	v_mul_f32_e32 v146, v146, v52                              // 000000004E94: 0B246992
	v_mul_f32_e32 v147, v147, v53                              // 000000004E98: 0B266B93
	v_mul_f32_e32 v144, v144, v80                              // 000000004E9C: 0B20A190
	v_mul_f32_e32 v145, v145, v81                              // 000000004EA0: 0B22A391
	v_mul_f32_e32 v146, v146, v82                              // 000000004EA4: 0B24A592
	v_mul_f32_e32 v147, v147, v83                              // 000000004EA8: 0B26A793
	buffer_load_dwordx4 a[40:43], v42, s[12:15], 0 offen       // 000000004EAC: E05C1000 8083282A
	v_mul_f32_e64 v50, -v148, s6                               // 000000004EB4: D1050032 20000D94
	v_mul_f32_e64 v51, -v149, s6                               // 000000004EBC: D1050033 20000D95
	v_mul_f32_e64 v52, -v150, s6                               // 000000004EC4: D1050034 20000D96
	v_mul_f32_e64 v53, -v151, s6                               // 000000004ECC: D1050035 20000D97
	v_exp_f32_e32 v50, v50                                     // 000000004ED4: 7E644132
	v_exp_f32_e32 v51, v51                                     // 000000004ED8: 7E664133
	v_exp_f32_e32 v52, v52                                     // 000000004EDC: 7E684134
	v_exp_f32_e32 v53, v53                                     // 000000004EE0: 7E6A4135
	buffer_load_dwordx4 a[44:47], v43, s[12:15], 0 offen       // 000000004EE4: E05C1000 80832C2B
	s_add_u32 s12, s78, s12                                    // 000000004EEC: 800C0C4E
	s_addc_u32 s13, 0, s13                                     // 000000004EF0: 820D0D80
	v_add_f32_e64 v50, v50, 1.0                                // 000000004EF4: D1010032 0001E532
	v_add_f32_e64 v51, v51, 1.0                                // 000000004EFC: D1010033 0001E533
	v_add_f32_e64 v52, v52, 1.0                                // 000000004F04: D1010034 0001E534
	v_add_f32_e64 v53, v53, 1.0                                // 000000004F0C: D1010035 0001E535
	v_rcp_f32_e32 v50, v50                                     // 000000004F14: 7E644532
	v_rcp_f32_e32 v51, v51                                     // 000000004F18: 7E664533
	v_rcp_f32_e32 v52, v52                                     // 000000004F1C: 7E684534
	v_rcp_f32_e32 v53, v53                                     // 000000004F20: 7E6A4535
	v_mul_f32_e32 v148, v148, v50                              // 000000004F24: 0B286594
	v_mul_f32_e32 v149, v149, v51                              // 000000004F28: 0B2A6795
	v_mul_f32_e32 v150, v150, v52                              // 000000004F2C: 0B2C6996
	v_mul_f32_e32 v151, v151, v53                              // 000000004F30: 0B2E6B97
	v_mul_f32_e32 v148, v148, v84                              // 000000004F34: 0B28A994
	v_mul_f32_e32 v149, v149, v85                              // 000000004F38: 0B2AAB95
	v_mul_f32_e32 v150, v150, v86                              // 000000004F3C: 0B2CAD96
	v_mul_f32_e32 v151, v151, v87                              // 000000004F40: 0B2EAF97
	s_waitcnt vmcnt(20)                                        // 000000004F44: BF8C4F74
	buffer_load_dwordx4 a[48:51], v40, s[12:15], 0 offen       // 000000004F48: E05C1000 80833028
	v_mul_f32_e64 v50, -v152, s6                               // 000000004F50: D1050032 20000D98
	v_mul_f32_e64 v51, -v153, s6                               // 000000004F58: D1050033 20000D99
	v_mul_f32_e64 v52, -v154, s6                               // 000000004F60: D1050034 20000D9A
	v_mul_f32_e64 v53, -v155, s6                               // 000000004F68: D1050035 20000D9B
	v_exp_f32_e32 v50, v50                                     // 000000004F70: 7E644132
	v_exp_f32_e32 v51, v51                                     // 000000004F74: 7E664133
	v_exp_f32_e32 v52, v52                                     // 000000004F78: 7E684134
	v_exp_f32_e32 v53, v53                                     // 000000004F7C: 7E6A4135
	buffer_load_dwordx4 a[52:55], v41, s[12:15], 0 offen       // 000000004F80: E05C1000 80833429
	v_add_f32_e64 v50, v50, 1.0                                // 000000004F88: D1010032 0001E532
	v_add_f32_e64 v51, v51, 1.0                                // 000000004F90: D1010033 0001E533
	v_add_f32_e64 v52, v52, 1.0                                // 000000004F98: D1010034 0001E534
	v_add_f32_e64 v53, v53, 1.0                                // 000000004FA0: D1010035 0001E535
	v_rcp_f32_e32 v50, v50                                     // 000000004FA8: 7E644532
	v_rcp_f32_e32 v51, v51                                     // 000000004FAC: 7E664533
	v_rcp_f32_e32 v52, v52                                     // 000000004FB0: 7E684534
	v_rcp_f32_e32 v53, v53                                     // 000000004FB4: 7E6A4535
	v_mul_f32_e32 v152, v152, v50                              // 000000004FB8: 0B306598
	v_mul_f32_e32 v153, v153, v51                              // 000000004FBC: 0B326799
	v_mul_f32_e32 v154, v154, v52                              // 000000004FC0: 0B34699A
	v_mul_f32_e32 v155, v155, v53                              // 000000004FC4: 0B366B9B
	v_mul_f32_e32 v152, v152, v88                              // 000000004FC8: 0B30B198
	v_mul_f32_e32 v153, v153, v89                              // 000000004FCC: 0B32B399
	v_mul_f32_e32 v154, v154, v90                              // 000000004FD0: 0B34B59A
	v_mul_f32_e32 v155, v155, v91                              // 000000004FD4: 0B36B79B
	buffer_load_dwordx4 a[56:59], v42, s[12:15], 0 offen       // 000000004FD8: E05C1000 8083382A
	v_mul_f32_e64 v50, -v156, s6                               // 000000004FE0: D1050032 20000D9C
	v_mul_f32_e64 v51, -v157, s6                               // 000000004FE8: D1050033 20000D9D
	v_mul_f32_e64 v52, -v158, s6                               // 000000004FF0: D1050034 20000D9E
	v_mul_f32_e64 v53, -v159, s6                               // 000000004FF8: D1050035 20000D9F
	v_exp_f32_e32 v50, v50                                     // 000000005000: 7E644132
	v_exp_f32_e32 v51, v51                                     // 000000005004: 7E664133
	v_exp_f32_e32 v52, v52                                     // 000000005008: 7E684134
	v_exp_f32_e32 v53, v53                                     // 00000000500C: 7E6A4135
	buffer_load_dwordx4 a[60:63], v43, s[12:15], 0 offen       // 000000005010: E05C1000 80833C2B
	s_add_u32 s12, s78, s12                                    // 000000005018: 800C0C4E
	s_addc_u32 s13, 0, s13                                     // 00000000501C: 820D0D80
	v_add_f32_e64 v50, v50, 1.0                                // 000000005020: D1010032 0001E532
	v_add_f32_e64 v51, v51, 1.0                                // 000000005028: D1010033 0001E533
	v_add_f32_e64 v52, v52, 1.0                                // 000000005030: D1010034 0001E534
	v_add_f32_e64 v53, v53, 1.0                                // 000000005038: D1010035 0001E535
	v_rcp_f32_e32 v50, v50                                     // 000000005040: 7E644532
	v_rcp_f32_e32 v51, v51                                     // 000000005044: 7E664533
	v_rcp_f32_e32 v52, v52                                     // 000000005048: 7E684534
	v_rcp_f32_e32 v53, v53                                     // 00000000504C: 7E6A4535
	v_mul_f32_e32 v156, v156, v50                              // 000000005050: 0B38659C
	v_mul_f32_e32 v157, v157, v51                              // 000000005054: 0B3A679D
	v_mul_f32_e32 v158, v158, v52                              // 000000005058: 0B3C699E
	v_mul_f32_e32 v159, v159, v53                              // 00000000505C: 0B3E6B9F
	v_mul_f32_e32 v156, v156, v92                              // 000000005060: 0B38B99C
	v_mul_f32_e32 v157, v157, v93                              // 000000005064: 0B3ABB9D
	v_mul_f32_e32 v158, v158, v94                              // 000000005068: 0B3CBD9E
	v_mul_f32_e32 v159, v159, v95                              // 00000000506C: 0B3EBF9F
	s_waitcnt vmcnt(20)                                        // 000000005070: BF8C4F74
	buffer_load_dwordx4 a[64:67], v40, s[12:15], 0 offen       // 000000005074: E05C1000 80834028
	v_mul_f32_e64 v50, -v160, s6                               // 00000000507C: D1050032 20000DA0
	v_mul_f32_e64 v51, -v161, s6                               // 000000005084: D1050033 20000DA1
	v_mul_f32_e64 v52, -v162, s6                               // 00000000508C: D1050034 20000DA2
	v_mul_f32_e64 v53, -v163, s6                               // 000000005094: D1050035 20000DA3
	v_exp_f32_e32 v50, v50                                     // 00000000509C: 7E644132
	v_exp_f32_e32 v51, v51                                     // 0000000050A0: 7E664133
	v_exp_f32_e32 v52, v52                                     // 0000000050A4: 7E684134
	v_exp_f32_e32 v53, v53                                     // 0000000050A8: 7E6A4135
	buffer_load_dwordx4 a[68:71], v41, s[12:15], 0 offen       // 0000000050AC: E05C1000 80834429
	v_add_f32_e64 v50, v50, 1.0                                // 0000000050B4: D1010032 0001E532
	v_add_f32_e64 v51, v51, 1.0                                // 0000000050BC: D1010033 0001E533
	v_add_f32_e64 v52, v52, 1.0                                // 0000000050C4: D1010034 0001E534
	v_add_f32_e64 v53, v53, 1.0                                // 0000000050CC: D1010035 0001E535
	v_rcp_f32_e32 v50, v50                                     // 0000000050D4: 7E644532
	v_rcp_f32_e32 v51, v51                                     // 0000000050D8: 7E664533
	v_rcp_f32_e32 v52, v52                                     // 0000000050DC: 7E684534
	v_rcp_f32_e32 v53, v53                                     // 0000000050E0: 7E6A4535
	v_mul_f32_e32 v160, v160, v50                              // 0000000050E4: 0B4065A0
	v_mul_f32_e32 v161, v161, v51                              // 0000000050E8: 0B4267A1
	v_mul_f32_e32 v162, v162, v52                              // 0000000050EC: 0B4469A2
	v_mul_f32_e32 v163, v163, v53                              // 0000000050F0: 0B466BA3
	v_mul_f32_e32 v160, v160, v96                              // 0000000050F4: 0B40C1A0
	v_mul_f32_e32 v161, v161, v97                              // 0000000050F8: 0B42C3A1
	v_mul_f32_e32 v162, v162, v98                              // 0000000050FC: 0B44C5A2
	v_mul_f32_e32 v163, v163, v99                              // 000000005100: 0B46C7A3
	buffer_load_dwordx4 a[72:75], v42, s[12:15], 0 offen       // 000000005104: E05C1000 8083482A
	v_mul_f32_e64 v50, -v164, s6                               // 00000000510C: D1050032 20000DA4
	v_mul_f32_e64 v51, -v165, s6                               // 000000005114: D1050033 20000DA5
	v_mul_f32_e64 v52, -v166, s6                               // 00000000511C: D1050034 20000DA6
	v_mul_f32_e64 v53, -v167, s6                               // 000000005124: D1050035 20000DA7
	v_exp_f32_e32 v50, v50                                     // 00000000512C: 7E644132
	v_exp_f32_e32 v51, v51                                     // 000000005130: 7E664133
	v_exp_f32_e32 v52, v52                                     // 000000005134: 7E684134
	v_exp_f32_e32 v53, v53                                     // 000000005138: 7E6A4135
	buffer_load_dwordx4 a[76:79], v43, s[12:15], 0 offen       // 00000000513C: E05C1000 80834C2B
	s_add_u32 s12, s78, s12                                    // 000000005144: 800C0C4E
	s_addc_u32 s13, 0, s13                                     // 000000005148: 820D0D80
	v_add_f32_e64 v50, v50, 1.0                                // 00000000514C: D1010032 0001E532
	v_add_f32_e64 v51, v51, 1.0                                // 000000005154: D1010033 0001E533
	v_add_f32_e64 v52, v52, 1.0                                // 00000000515C: D1010034 0001E534
	v_add_f32_e64 v53, v53, 1.0                                // 000000005164: D1010035 0001E535
	v_rcp_f32_e32 v50, v50                                     // 00000000516C: 7E644532
	v_rcp_f32_e32 v51, v51                                     // 000000005170: 7E664533
	v_rcp_f32_e32 v52, v52                                     // 000000005174: 7E684534
	v_rcp_f32_e32 v53, v53                                     // 000000005178: 7E6A4535
	v_mul_f32_e32 v164, v164, v50                              // 00000000517C: 0B4865A4
	v_mul_f32_e32 v165, v165, v51                              // 000000005180: 0B4A67A5
	v_mul_f32_e32 v166, v166, v52                              // 000000005184: 0B4C69A6
	v_mul_f32_e32 v167, v167, v53                              // 000000005188: 0B4E6BA7
	v_mul_f32_e32 v164, v164, v100                             // 00000000518C: 0B48C9A4
	v_mul_f32_e32 v165, v165, v101                             // 000000005190: 0B4ACBA5
	v_mul_f32_e32 v166, v166, v102                             // 000000005194: 0B4CCDA6
	v_mul_f32_e32 v167, v167, v103                             // 000000005198: 0B4ECFA7
	s_waitcnt vmcnt(20)                                        // 00000000519C: BF8C4F74
	buffer_load_dwordx4 a[80:83], v40, s[12:15], 0 offen       // 0000000051A0: E05C1000 80835028
	v_mul_f32_e64 v50, -v168, s6                               // 0000000051A8: D1050032 20000DA8
	v_mul_f32_e64 v51, -v169, s6                               // 0000000051B0: D1050033 20000DA9
	v_mul_f32_e64 v52, -v170, s6                               // 0000000051B8: D1050034 20000DAA
	v_mul_f32_e64 v53, -v171, s6                               // 0000000051C0: D1050035 20000DAB
	v_exp_f32_e32 v50, v50                                     // 0000000051C8: 7E644132
	v_exp_f32_e32 v51, v51                                     // 0000000051CC: 7E664133
	v_exp_f32_e32 v52, v52                                     // 0000000051D0: 7E684134
	v_exp_f32_e32 v53, v53                                     // 0000000051D4: 7E6A4135
	buffer_load_dwordx4 a[84:87], v41, s[12:15], 0 offen       // 0000000051D8: E05C1000 80835429
	v_add_f32_e64 v50, v50, 1.0                                // 0000000051E0: D1010032 0001E532
	v_add_f32_e64 v51, v51, 1.0                                // 0000000051E8: D1010033 0001E533
	v_add_f32_e64 v52, v52, 1.0                                // 0000000051F0: D1010034 0001E534
	v_add_f32_e64 v53, v53, 1.0                                // 0000000051F8: D1010035 0001E535
	v_rcp_f32_e32 v50, v50                                     // 000000005200: 7E644532
	v_rcp_f32_e32 v51, v51                                     // 000000005204: 7E664533
	v_rcp_f32_e32 v52, v52                                     // 000000005208: 7E684534
	v_rcp_f32_e32 v53, v53                                     // 00000000520C: 7E6A4535
	v_mul_f32_e32 v168, v168, v50                              // 000000005210: 0B5065A8
	v_mul_f32_e32 v169, v169, v51                              // 000000005214: 0B5267A9
	v_mul_f32_e32 v170, v170, v52                              // 000000005218: 0B5469AA
	v_mul_f32_e32 v171, v171, v53                              // 00000000521C: 0B566BAB
	v_mul_f32_e32 v168, v168, v104                             // 000000005220: 0B50D1A8
	v_mul_f32_e32 v169, v169, v105                             // 000000005224: 0B52D3A9
	v_mul_f32_e32 v170, v170, v106                             // 000000005228: 0B54D5AA
	v_mul_f32_e32 v171, v171, v107                             // 00000000522C: 0B56D7AB
	buffer_load_dwordx4 a[88:91], v42, s[12:15], 0 offen       // 000000005230: E05C1000 8083582A
	v_mul_f32_e64 v50, -v172, s6                               // 000000005238: D1050032 20000DAC
	v_mul_f32_e64 v51, -v173, s6                               // 000000005240: D1050033 20000DAD
	v_mul_f32_e64 v52, -v174, s6                               // 000000005248: D1050034 20000DAE
	v_mul_f32_e64 v53, -v175, s6                               // 000000005250: D1050035 20000DAF
	v_exp_f32_e32 v50, v50                                     // 000000005258: 7E644132
	v_exp_f32_e32 v51, v51                                     // 00000000525C: 7E664133
	v_exp_f32_e32 v52, v52                                     // 000000005260: 7E684134
	v_exp_f32_e32 v53, v53                                     // 000000005264: 7E6A4135
	buffer_load_dwordx4 a[92:95], v43, s[12:15], 0 offen       // 000000005268: E05C1000 80835C2B
	v_add_f32_e64 v50, v50, 1.0                                // 000000005270: D1010032 0001E532
	v_add_f32_e64 v51, v51, 1.0                                // 000000005278: D1010033 0001E533
	v_add_f32_e64 v52, v52, 1.0                                // 000000005280: D1010034 0001E534
	v_add_f32_e64 v53, v53, 1.0                                // 000000005288: D1010035 0001E535
	v_rcp_f32_e32 v50, v50                                     // 000000005290: 7E644532
	v_rcp_f32_e32 v51, v51                                     // 000000005294: 7E664533
	v_rcp_f32_e32 v52, v52                                     // 000000005298: 7E684534
	v_rcp_f32_e32 v53, v53                                     // 00000000529C: 7E6A4535
	v_mul_f32_e32 v172, v172, v50                              // 0000000052A0: 0B5865AC
	v_mul_f32_e32 v173, v173, v51                              // 0000000052A4: 0B5A67AD
	v_mul_f32_e32 v174, v174, v52                              // 0000000052A8: 0B5C69AE
	v_mul_f32_e32 v175, v175, v53                              // 0000000052AC: 0B5E6BAF
	v_mul_f32_e32 v172, v172, v108                             // 0000000052B0: 0B58D9AC
	v_mul_f32_e32 v173, v173, v109                             // 0000000052B4: 0B5ADBAD
	v_mul_f32_e32 v174, v174, v110                             // 0000000052B8: 0B5CDDAE
	v_mul_f32_e32 v175, v175, v111                             // 0000000052BC: 0B5EDFAF
	v_mul_f32_dpp v128, v18, v128 row_newbcast:0 row_mask:0xf bank_mask:0xf// 0000000052C0: 0B0100FA FF015012
	v_mul_f32_dpp v129, v18, v129 row_newbcast:1 row_mask:0xf bank_mask:0xf// 0000000052C8: 0B0302FA FF015112
	v_mul_f32_dpp v130, v18, v130 row_newbcast:2 row_mask:0xf bank_mask:0xf// 0000000052D0: 0B0504FA FF015212
	v_mul_f32_dpp v131, v18, v131 row_newbcast:3 row_mask:0xf bank_mask:0xf// 0000000052D8: 0B0706FA FF015312
	v_mul_f32_dpp v132, v18, v132 row_newbcast:0 row_mask:0xf bank_mask:0xf// 0000000052E0: 0B0908FA FF015012
	v_mul_f32_dpp v133, v18, v133 row_newbcast:1 row_mask:0xf bank_mask:0xf// 0000000052E8: 0B0B0AFA FF015112
	v_mul_f32_dpp v134, v18, v134 row_newbcast:2 row_mask:0xf bank_mask:0xf// 0000000052F0: 0B0D0CFA FF015212
	v_mul_f32_dpp v135, v18, v135 row_newbcast:3 row_mask:0xf bank_mask:0xf// 0000000052F8: 0B0F0EFA FF015312
	v_mul_f32_dpp v136, v18, v136 row_newbcast:4 row_mask:0xf bank_mask:0xf// 000000005300: 0B1110FA FF015412
	v_mul_f32_dpp v137, v18, v137 row_newbcast:5 row_mask:0xf bank_mask:0xf// 000000005308: 0B1312FA FF015512
	v_mul_f32_dpp v138, v18, v138 row_newbcast:6 row_mask:0xf bank_mask:0xf// 000000005310: 0B1514FA FF015612
	v_mul_f32_dpp v139, v18, v139 row_newbcast:7 row_mask:0xf bank_mask:0xf// 000000005318: 0B1716FA FF015712
	v_mul_f32_dpp v140, v18, v140 row_newbcast:4 row_mask:0xf bank_mask:0xf// 000000005320: 0B1918FA FF015412
	v_mul_f32_dpp v141, v18, v141 row_newbcast:5 row_mask:0xf bank_mask:0xf// 000000005328: 0B1B1AFA FF015512
	v_mul_f32_dpp v142, v18, v142 row_newbcast:6 row_mask:0xf bank_mask:0xf// 000000005330: 0B1D1CFA FF015612
	v_mul_f32_dpp v143, v18, v143 row_newbcast:7 row_mask:0xf bank_mask:0xf// 000000005338: 0B1F1EFA FF015712
	v_mul_f32_dpp v144, v18, v144 row_newbcast:8 row_mask:0xf bank_mask:0xf// 000000005340: 0B2120FA FF015812
	v_mul_f32_dpp v145, v18, v145 row_newbcast:9 row_mask:0xf bank_mask:0xf// 000000005348: 0B2322FA FF015912
	v_mul_f32_dpp v146, v18, v146 row_newbcast:10 row_mask:0xf bank_mask:0xf// 000000005350: 0B2524FA FF015A12
	v_mul_f32_dpp v147, v18, v147 row_newbcast:11 row_mask:0xf bank_mask:0xf// 000000005358: 0B2726FA FF015B12
	v_mul_f32_dpp v148, v18, v148 row_newbcast:8 row_mask:0xf bank_mask:0xf// 000000005360: 0B2928FA FF015812
	v_mul_f32_dpp v149, v18, v149 row_newbcast:9 row_mask:0xf bank_mask:0xf// 000000005368: 0B2B2AFA FF015912
	v_mul_f32_dpp v150, v18, v150 row_newbcast:10 row_mask:0xf bank_mask:0xf// 000000005370: 0B2D2CFA FF015A12
	v_mul_f32_dpp v151, v18, v151 row_newbcast:11 row_mask:0xf bank_mask:0xf// 000000005378: 0B2F2EFA FF015B12
	v_mul_f32_dpp v152, v18, v152 row_newbcast:12 row_mask:0xf bank_mask:0xf// 000000005380: 0B3130FA FF015C12
	v_mul_f32_dpp v153, v18, v153 row_newbcast:13 row_mask:0xf bank_mask:0xf// 000000005388: 0B3332FA FF015D12
	v_mul_f32_dpp v154, v18, v154 row_newbcast:14 row_mask:0xf bank_mask:0xf// 000000005390: 0B3534FA FF015E12
	v_mul_f32_dpp v155, v18, v155 row_newbcast:15 row_mask:0xf bank_mask:0xf// 000000005398: 0B3736FA FF015F12
	v_mul_f32_dpp v156, v18, v156 row_newbcast:12 row_mask:0xf bank_mask:0xf// 0000000053A0: 0B3938FA FF015C12
	v_mul_f32_dpp v157, v18, v157 row_newbcast:13 row_mask:0xf bank_mask:0xf// 0000000053A8: 0B3B3AFA FF015D12
	v_mul_f32_dpp v158, v18, v158 row_newbcast:14 row_mask:0xf bank_mask:0xf// 0000000053B0: 0B3D3CFA FF015E12
	v_mul_f32_dpp v159, v18, v159 row_newbcast:15 row_mask:0xf bank_mask:0xf// 0000000053B8: 0B3F3EFA FF015F12
	v_mul_f32_dpp v160, v19, v160 row_newbcast:0 row_mask:0xf bank_mask:0xf// 0000000053C0: 0B4140FA FF015013
	v_mul_f32_dpp v161, v19, v161 row_newbcast:1 row_mask:0xf bank_mask:0xf// 0000000053C8: 0B4342FA FF015113
	v_mul_f32_dpp v162, v19, v162 row_newbcast:2 row_mask:0xf bank_mask:0xf// 0000000053D0: 0B4544FA FF015213
	v_mul_f32_dpp v163, v19, v163 row_newbcast:3 row_mask:0xf bank_mask:0xf// 0000000053D8: 0B4746FA FF015313
	v_mul_f32_dpp v164, v19, v164 row_newbcast:0 row_mask:0xf bank_mask:0xf// 0000000053E0: 0B4948FA FF015013
	v_mul_f32_dpp v165, v19, v165 row_newbcast:1 row_mask:0xf bank_mask:0xf// 0000000053E8: 0B4B4AFA FF015113
	v_mul_f32_dpp v166, v19, v166 row_newbcast:2 row_mask:0xf bank_mask:0xf// 0000000053F0: 0B4D4CFA FF015213
	v_mul_f32_dpp v167, v19, v167 row_newbcast:3 row_mask:0xf bank_mask:0xf// 0000000053F8: 0B4F4EFA FF015313
	v_mul_f32_dpp v168, v19, v168 row_newbcast:4 row_mask:0xf bank_mask:0xf// 000000005400: 0B5150FA FF015413
	v_mul_f32_dpp v169, v19, v169 row_newbcast:5 row_mask:0xf bank_mask:0xf// 000000005408: 0B5352FA FF015513
	v_mul_f32_dpp v170, v19, v170 row_newbcast:6 row_mask:0xf bank_mask:0xf// 000000005410: 0B5554FA FF015613
	v_mul_f32_dpp v171, v19, v171 row_newbcast:7 row_mask:0xf bank_mask:0xf// 000000005418: 0B5756FA FF015713
	v_mul_f32_dpp v172, v19, v172 row_newbcast:4 row_mask:0xf bank_mask:0xf// 000000005420: 0B5958FA FF015413
	v_mul_f32_dpp v173, v19, v173 row_newbcast:5 row_mask:0xf bank_mask:0xf// 000000005428: 0B5B5AFA FF015513
	v_mul_f32_dpp v174, v19, v174 row_newbcast:6 row_mask:0xf bank_mask:0xf// 000000005430: 0B5D5CFA FF015613
	v_mul_f32_dpp v175, v19, v175 row_newbcast:7 row_mask:0xf bank_mask:0xf// 000000005438: 0B5F5EFA FF015713
	v_lshlrev_b32_e32 v50, 2, v0                               // 000000005440: 24640082
	s_mul_i32 s60, s82, s71                                    // 000000005444: 923C4752
	v_add_u32_e64 v80, v50, s60                                // 000000005448: D1340050 00007932
	v_mov_b32_e32 v81, 0                                       // 000000005450: 7EA20280
	s_mul_i32 s60, s83, s71                                    // 000000005454: 923C4753
	v_add_u32_e64 v82, v50, s60                                // 000000005458: D1340052 00007932
	v_mov_b32_e32 v83, 0                                       // 000000005460: 7EA60280
	s_mul_i32 s60, s84, s71                                    // 000000005464: 923C4754
	v_add_u32_e64 v84, v50, s60                                // 000000005468: D1340054 00007932
	v_mov_b32_e32 v85, 0                                       // 000000005470: 7EAA0280
	s_mul_i32 s60, s85, s71                                    // 000000005474: 923C4755
	v_add_u32_e64 v86, v50, s60                                // 000000005478: D1340056 00007932
	v_mov_b32_e32 v87, 0                                       // 000000005480: 7EAE0280
	s_mul_i32 s60, s86, s71                                    // 000000005484: 923C4756
	v_add_u32_e64 v88, v50, s60                                // 000000005488: D1340058 00007932
	v_mov_b32_e32 v89, 0                                       // 000000005490: 7EB20280
	s_mul_i32 s60, s87, s71                                    // 000000005494: 923C4757
	v_add_u32_e64 v90, v50, s60                                // 000000005498: D134005A 00007932
	v_mov_b32_e32 v91, 0                                       // 0000000054A0: 7EB60280
	s_mul_i32 s60, s88, s71                                    // 0000000054A4: 923C4758
	v_add_u32_e64 v92, v50, s60                                // 0000000054A8: D134005C 00007932
	v_mov_b32_e32 v93, 0                                       // 0000000054B0: 7EBA0280
	s_mul_i32 s60, s89, s71                                    // 0000000054B4: 923C4759
	v_add_u32_e64 v94, v50, s60                                // 0000000054B8: D134005E 00007932
	v_mov_b32_e32 v95, 0                                       // 0000000054C0: 7EBE0280
	buffer_load_dword v12, v5, s[16:19], 0 offen               // 0000000054C4: E0501000 80040C05
	v_mov_b32_e32 v22, 0x358637bd                              // 0000000054CC: 7E2C02FF 358637BD
	v_mov_b32_e32 v23, 0x358637bd                              // 0000000054D4: 7E2E02FF 358637BD
	v_max3_f32 v22, |v128|, |v129|, v22                        // 0000000054DC: D1D30316 045B0380
	v_max3_f32 v22, |v130|, |v131|, v22                        // 0000000054E4: D1D30316 045B0782
	v_max3_f32 v23, |v132|, |v133|, v23                        // 0000000054EC: D1D30317 045F0B84
	v_max3_f32 v23, |v134|, |v135|, v23                        // 0000000054F4: D1D30317 045F0F86
	v_max3_f32 v22, |v136|, |v137|, v22                        // 0000000054FC: D1D30316 045B1388
	v_max3_f32 v22, |v138|, |v139|, v22                        // 000000005504: D1D30316 045B178A
	v_max3_f32 v23, |v140|, |v141|, v23                        // 00000000550C: D1D30317 045F1B8C
	v_max3_f32 v23, |v142|, |v143|, v23                        // 000000005514: D1D30317 045F1F8E
	v_max3_f32 v22, |v144|, |v145|, v22                        // 00000000551C: D1D30316 045B2390
	v_max3_f32 v22, |v146|, |v147|, v22                        // 000000005524: D1D30316 045B2792
	v_max3_f32 v23, |v148|, |v149|, v23                        // 00000000552C: D1D30317 045F2B94
	v_max3_f32 v23, |v150|, |v151|, v23                        // 000000005534: D1D30317 045F2F96
	v_max3_f32 v22, |v152|, |v153|, v22                        // 00000000553C: D1D30316 045B3398
	v_max3_f32 v22, |v154|, |v155|, v22                        // 000000005544: D1D30316 045B379A
	v_max3_f32 v23, |v156|, |v157|, v23                        // 00000000554C: D1D30317 045F3B9C
	v_max3_f32 v23, |v158|, |v159|, v23                        // 000000005554: D1D30317 045F3F9E
	v_max3_f32 v22, |v160|, |v161|, v22                        // 00000000555C: D1D30316 045B43A0
	v_max3_f32 v22, |v162|, |v163|, v22                        // 000000005564: D1D30316 045B47A2
	v_max3_f32 v23, |v164|, |v165|, v23                        // 00000000556C: D1D30317 045F4BA4
	v_max3_f32 v23, |v166|, |v167|, v23                        // 000000005574: D1D30317 045F4FA6
	v_max3_f32 v22, |v168|, |v169|, v22                        // 00000000557C: D1D30316 045B53A8
	v_max3_f32 v22, |v170|, |v171|, v22                        // 000000005584: D1D30316 045B57AA
	v_max3_f32 v23, |v172|, |v173|, v23                        // 00000000558C: D1D30317 045F5BAC
	v_max3_f32 v23, |v174|, |v175|, v23                        // 000000005594: D1D30317 045F5FAE
	v_lshlrev_b32_e32 v50, 3, v0                               // 00000000559C: 24640083
	s_mul_i32 s60, 0x200, s7                                   // 0000000055A0: 923C07FF 00000200
	v_add_u32_e32 v50, s60, v50                                // 0000000055A8: 6864643C
	ds_write_b64 v50, v[22:23] offset:16640                    // 0000000055AC: D89A4100 00001632
	s_waitcnt lgkmcnt(0)                                       // 0000000055B4: BF8CC07F
	s_barrier                                                  // 0000000055B8: BF8A0000
	v_and_b32_e32 v50, 15, v0                                  // 0000000055BC: 2664008F
	v_lshlrev_b32_e32 v50, 3, v50                              // 0000000055C0: 24646483
	ds_read_b64 v[96:97], v50 offset:16640                     // 0000000055C4: D8EC4100 60000032
	ds_read_b64 v[98:99], v50 offset:16768                     // 0000000055CC: D8EC4180 62000032
	ds_read_b64 v[100:101], v50 offset:16896                   // 0000000055D4: D8EC4200 64000032
	ds_read_b64 v[102:103], v50 offset:17024                   // 0000000055DC: D8EC4280 66000032
	ds_read_b64 v[104:105], v50 offset:17152                   // 0000000055E4: D8EC4300 68000032
	ds_read_b64 v[106:107], v50 offset:17280                   // 0000000055EC: D8EC4380 6A000032
	ds_read_b64 v[108:109], v50 offset:17408                   // 0000000055F4: D8EC4400 6C000032
	ds_read_b64 v[110:111], v50 offset:17536                   // 0000000055FC: D8EC4480 6E000032
	ds_read_b64 v[112:113], v50 offset:17664                   // 000000005604: D8EC4500 70000032
	ds_read_b64 v[114:115], v50 offset:17792                   // 00000000560C: D8EC4580 72000032
	ds_read_b64 v[116:117], v50 offset:17920                   // 000000005614: D8EC4600 74000032
	ds_read_b64 v[118:119], v50 offset:18048                   // 00000000561C: D8EC4680 76000032
	ds_read_b64 v[120:121], v50 offset:18176                   // 000000005624: D8EC4700 78000032
	ds_read_b64 v[122:123], v50 offset:18304                   // 00000000562C: D8EC4780 7A000032
	ds_read_b64 v[124:125], v50 offset:18432                   // 000000005634: D8EC4800 7C000032
	ds_read_b64 v[126:127], v50 offset:18560                   // 00000000563C: D8EC4880 7E000032
	s_waitcnt lgkmcnt(0)                                       // 000000005644: BF8CC07F
	v_max3_f32 v22, |v96|, |v98|, v22                          // 000000005648: D1D30316 045AC560
	v_max3_f32 v23, |v97|, |v99|, v23                          // 000000005650: D1D30317 045EC761
	v_max3_f32 v22, |v100|, |v102|, v22                        // 000000005658: D1D30316 045ACD64
	v_max3_f32 v23, |v101|, |v103|, v23                        // 000000005660: D1D30317 045ECF65
	v_max3_f32 v22, |v104|, |v106|, v22                        // 000000005668: D1D30316 045AD568
	v_max3_f32 v23, |v105|, |v107|, v23                        // 000000005670: D1D30317 045ED769
	v_max3_f32 v22, |v108|, |v110|, v22                        // 000000005678: D1D30316 045ADD6C
	v_max3_f32 v23, |v109|, |v111|, v23                        // 000000005680: D1D30317 045EDF6D
	v_max3_f32 v22, |v112|, |v114|, v22                        // 000000005688: D1D30316 045AE570
	v_max3_f32 v23, |v113|, |v115|, v23                        // 000000005690: D1D30317 045EE771
	v_max3_f32 v22, |v116|, |v118|, v22                        // 000000005698: D1D30316 045AED74
	v_max3_f32 v23, |v117|, |v119|, v23                        // 0000000056A0: D1D30317 045EEF75
	v_max3_f32 v22, |v120|, |v122|, v22                        // 0000000056A8: D1D30316 045AF578
	v_max3_f32 v23, |v121|, |v123|, v23                        // 0000000056B0: D1D30317 045EF779
	v_max3_f32 v22, |v124|, |v126|, v22                        // 0000000056B8: D1D30316 045AFD7C
	v_max3_f32 v23, |v125|, |v127|, v23                        // 0000000056C0: D1D30317 045EFF7D
	v_rcp_f32_e32 v22, v22                                     // 0000000056C8: 7E2C4516
	v_rcp_f32_e32 v23, v23                                     // 0000000056CC: 7E2E4517
	v_mov_b32_e32 v50, 0x43700000                              // 0000000056D0: 7E6402FF 43700000
	v_mul_f32_e32 v22, v50, v22                                // 0000000056D8: 0A2C2D32
	v_mul_f32_e32 v23, v50, v23                                // 0000000056DC: 0A2E2F32
	v_mul_f32_e32 v128, v22, v128                              // 0000000056E0: 0B010116
	v_mul_f32_e32 v129, v22, v129                              // 0000000056E4: 0B030316
	v_mul_f32_e32 v130, v22, v130                              // 0000000056E8: 0B050516
	v_mul_f32_e32 v131, v22, v131                              // 0000000056EC: 0B070716
	v_cvt_pk_fp8_f32 v128, v128, v129                          // 0000000056F0: D2A20080 00030380
	v_cvt_pk_fp8_f32 v128, v130, v131 op_sel:[0,0,1]           // 0000000056F8: D2A24080 00030782
	v_mul_f32_e32 v132, v23, v132                              // 000000005700: 0B090917
	v_mul_f32_e32 v133, v23, v133                              // 000000005704: 0B0B0B17
	v_mul_f32_e32 v134, v23, v134                              // 000000005708: 0B0D0D17
	v_mul_f32_e32 v135, v23, v135                              // 00000000570C: 0B0F0F17
	v_cvt_pk_fp8_f32 v129, v132, v133                          // 000000005710: D2A20081 00030B84
	v_cvt_pk_fp8_f32 v129, v134, v135 op_sel:[0,0,1]           // 000000005718: D2A24081 00030F86
	v_mul_f32_e32 v136, v22, v136                              // 000000005720: 0B111116
	v_mul_f32_e32 v137, v22, v137                              // 000000005724: 0B131316
	v_mul_f32_e32 v138, v22, v138                              // 000000005728: 0B151516
	v_mul_f32_e32 v139, v22, v139                              // 00000000572C: 0B171716
	v_cvt_pk_fp8_f32 v130, v136, v137                          // 000000005730: D2A20082 00031388
	v_cvt_pk_fp8_f32 v130, v138, v139 op_sel:[0,0,1]           // 000000005738: D2A24082 0003178A
	v_mul_f32_e32 v140, v23, v140                              // 000000005740: 0B191917
	v_mul_f32_e32 v141, v23, v141                              // 000000005744: 0B1B1B17
	v_mul_f32_e32 v142, v23, v142                              // 000000005748: 0B1D1D17
	v_mul_f32_e32 v143, v23, v143                              // 00000000574C: 0B1F1F17
	v_cvt_pk_fp8_f32 v131, v140, v141                          // 000000005750: D2A20083 00031B8C
	v_cvt_pk_fp8_f32 v131, v142, v143 op_sel:[0,0,1]           // 000000005758: D2A24083 00031F8E
	v_mul_f32_e32 v144, v22, v144                              // 000000005760: 0B212116
	v_mul_f32_e32 v145, v22, v145                              // 000000005764: 0B232316
	v_mul_f32_e32 v146, v22, v146                              // 000000005768: 0B252516
	v_mul_f32_e32 v147, v22, v147                              // 00000000576C: 0B272716
	v_cvt_pk_fp8_f32 v132, v144, v145                          // 000000005770: D2A20084 00032390
	v_cvt_pk_fp8_f32 v132, v146, v147 op_sel:[0,0,1]           // 000000005778: D2A24084 00032792
	v_mul_f32_e32 v148, v23, v148                              // 000000005780: 0B292917
	v_mul_f32_e32 v149, v23, v149                              // 000000005784: 0B2B2B17
	v_mul_f32_e32 v150, v23, v150                              // 000000005788: 0B2D2D17
	v_mul_f32_e32 v151, v23, v151                              // 00000000578C: 0B2F2F17
	v_cvt_pk_fp8_f32 v133, v148, v149                          // 000000005790: D2A20085 00032B94
	v_cvt_pk_fp8_f32 v133, v150, v151 op_sel:[0,0,1]           // 000000005798: D2A24085 00032F96
	v_mul_f32_e32 v152, v22, v152                              // 0000000057A0: 0B313116
	v_mul_f32_e32 v153, v22, v153                              // 0000000057A4: 0B333316
	v_mul_f32_e32 v154, v22, v154                              // 0000000057A8: 0B353516
	v_mul_f32_e32 v155, v22, v155                              // 0000000057AC: 0B373716
	v_cvt_pk_fp8_f32 v134, v152, v153                          // 0000000057B0: D2A20086 00033398
	v_cvt_pk_fp8_f32 v134, v154, v155 op_sel:[0,0,1]           // 0000000057B8: D2A24086 0003379A
	v_mul_f32_e32 v156, v23, v156                              // 0000000057C0: 0B393917
	v_mul_f32_e32 v157, v23, v157                              // 0000000057C4: 0B3B3B17
	v_mul_f32_e32 v158, v23, v158                              // 0000000057C8: 0B3D3D17
	v_mul_f32_e32 v159, v23, v159                              // 0000000057CC: 0B3F3F17
	v_cvt_pk_fp8_f32 v135, v156, v157                          // 0000000057D0: D2A20087 00033B9C
	v_cvt_pk_fp8_f32 v135, v158, v159 op_sel:[0,0,1]           // 0000000057D8: D2A24087 00033F9E
	v_mul_f32_e32 v160, v22, v160                              // 0000000057E0: 0B414116
	v_mul_f32_e32 v161, v22, v161                              // 0000000057E4: 0B434316
	v_mul_f32_e32 v162, v22, v162                              // 0000000057E8: 0B454516
	v_mul_f32_e32 v163, v22, v163                              // 0000000057EC: 0B474716
	v_cvt_pk_fp8_f32 v136, v160, v161                          // 0000000057F0: D2A20088 000343A0
	v_cvt_pk_fp8_f32 v136, v162, v163 op_sel:[0,0,1]           // 0000000057F8: D2A24088 000347A2
	v_mul_f32_e32 v164, v23, v164                              // 000000005800: 0B494917
	v_mul_f32_e32 v165, v23, v165                              // 000000005804: 0B4B4B17
	v_mul_f32_e32 v166, v23, v166                              // 000000005808: 0B4D4D17
	v_mul_f32_e32 v167, v23, v167                              // 00000000580C: 0B4F4F17
	v_cvt_pk_fp8_f32 v137, v164, v165                          // 000000005810: D2A20089 00034BA4
	v_cvt_pk_fp8_f32 v137, v166, v167 op_sel:[0,0,1]           // 000000005818: D2A24089 00034FA6
	v_mul_f32_e32 v168, v22, v168                              // 000000005820: 0B515116
	v_mul_f32_e32 v169, v22, v169                              // 000000005824: 0B535316
	v_mul_f32_e32 v170, v22, v170                              // 000000005828: 0B555516
	v_mul_f32_e32 v171, v22, v171                              // 00000000582C: 0B575716
	v_cvt_pk_fp8_f32 v138, v168, v169                          // 000000005830: D2A2008A 000353A8
	v_cvt_pk_fp8_f32 v138, v170, v171 op_sel:[0,0,1]           // 000000005838: D2A2408A 000357AA
	v_mul_f32_e32 v172, v23, v172                              // 000000005840: 0B595917
	v_mul_f32_e32 v173, v23, v173                              // 000000005844: 0B5B5B17
	v_mul_f32_e32 v174, v23, v174                              // 000000005848: 0B5D5D17
	v_mul_f32_e32 v175, v23, v175                              // 00000000584C: 0B5F5F17
	v_cvt_pk_fp8_f32 v139, v172, v173                          // 000000005850: D2A2008B 00035BAC
	v_cvt_pk_fp8_f32 v139, v174, v175 op_sel:[0,0,1]           // 000000005858: D2A2408B 00035FAE
	v_rcp_f32_e32 v24, v22                                     // 000000005860: 7E304516
	v_rcp_f32_e32 v25, v23                                     // 000000005864: 7E324517
	v_lshrrev_b32_e32 v50, 5, v0                               // 000000005868: 20640085
	v_lshlrev_b32_e32 v51, 5, v50                              // 00000000586C: 24666485
	v_and_b32_e32 v50, 31, v0                                  // 000000005870: 2664009F
	v_lshrrev_b32_e32 v52, 4, v50                              // 000000005874: 20686484
	v_add_u32_e32 v51, v52, v51                                // 000000005878: 68666734
	v_and_b32_e32 v50, 15, v0                                  // 00000000587C: 2664008F
	v_lshlrev_b32_e32 v50, 1, v50                              // 000000005880: 24646481
	v_add_u32_e32 v51, v50, v51                                // 000000005884: 68666732
	v_lshlrev_b32_e32 v50, 2, v51                              // 000000005888: 24646682
	s_mul_i32 s60, 0x100, s7                                   // 00000000588C: 923C07FF 00000100
	v_add_u32_e64 v50, v50, s60                                // 000000005894: D1340032 00007932
	ds_write_b32 v50, v128 offset:18688                        // 00000000589C: D81A4900 00008032
	ds_write_b32 v50, v129 offset:24832                        // 0000000058A4: D81A6100 00008132
	ds_write_b32 v50, v130 offset:19712                        // 0000000058AC: D81A4D00 00008232
	ds_write_b32 v50, v131 offset:25856                        // 0000000058B4: D81A6500 00008332
	ds_write_b32 v50, v132 offset:20736                        // 0000000058BC: D81A5100 00008432
	ds_write_b32 v50, v133 offset:26880                        // 0000000058C4: D81A6900 00008532
	ds_write_b32 v50, v134 offset:21760                        // 0000000058CC: D81A5500 00008632
	ds_write_b32 v50, v135 offset:27904                        // 0000000058D4: D81A6D00 00008732
	ds_write_b32 v50, v136 offset:22784                        // 0000000058DC: D81A5900 00008832
	ds_write_b32 v50, v137 offset:28928                        // 0000000058E4: D81A7100 00008932
	ds_write_b32 v50, v138 offset:23808                        // 0000000058EC: D81A5D00 00008A32
	ds_write_b32 v50, v139 offset:29952                        // 0000000058F4: D81A7500 00008B32
	s_waitcnt lgkmcnt(0)                                       // 0000000058FC: BF8CC07F
	s_barrier                                                  // 000000005900: BF8A0000
	v_lshrrev_b32_e32 v50, 4, v0                               // 000000005904: 20640084
	v_lshlrev_b32_e32 v51, 6, v50                              // 000000005908: 24666486
	v_and_b32_e32 v50, 15, v0                                  // 00000000590C: 2664008F
	v_lshlrev_b32_e32 v50, 1, v50                              // 000000005910: 24646481
	v_add_u32_e32 v51, v50, v51                                // 000000005914: 68666732
	v_lshlrev_b32_e32 v50, 2, v51                              // 000000005918: 24646682
	ds_read_b64 v[128:129], v50 offset:18688                   // 00000000591C: D8EC4900 80000032
	ds_read_b64 v[130:131], v50 offset:18816                   // 000000005924: D8EC4980 82000032
	ds_read_b64 v[132:133], v50 offset:19712                   // 00000000592C: D8EC4D00 84000032
	ds_read_b64 v[134:135], v50 offset:19840                   // 000000005934: D8EC4D80 86000032
	ds_read_b64 v[136:137], v50 offset:20736                   // 00000000593C: D8EC5100 88000032
	ds_read_b64 v[138:139], v50 offset:20864                   // 000000005944: D8EC5180 8A000032
	ds_read_b64 v[140:141], v50 offset:21760                   // 00000000594C: D8EC5500 8C000032
	ds_read_b64 v[142:143], v50 offset:21888                   // 000000005954: D8EC5580 8E000032
	ds_read_b64 v[144:145], v50 offset:22784                   // 00000000595C: D8EC5900 90000032
	ds_read_b64 v[146:147], v50 offset:22912                   // 000000005964: D8EC5980 92000032
	ds_read_b64 v[148:149], v50 offset:23808                   // 00000000596C: D8EC5D00 94000032
	ds_read_b64 v[150:151], v50 offset:23936                   // 000000005974: D8EC5D80 96000032
	ds_read_b64 v[152:153], v50 offset:24832                   // 00000000597C: D8EC6100 98000032
	ds_read_b64 v[154:155], v50 offset:24960                   // 000000005984: D8EC6180 9A000032
	ds_read_b64 v[156:157], v50 offset:25856                   // 00000000598C: D8EC6500 9C000032
	ds_read_b64 v[158:159], v50 offset:25984                   // 000000005994: D8EC6580 9E000032
	ds_read_b64 v[160:161], v50 offset:26880                   // 00000000599C: D8EC6900 A0000032
	ds_read_b64 v[162:163], v50 offset:27008                   // 0000000059A4: D8EC6980 A2000032
	ds_read_b64 v[164:165], v50 offset:27904                   // 0000000059AC: D8EC6D00 A4000032
	ds_read_b64 v[166:167], v50 offset:28032                   // 0000000059B4: D8EC6D80 A6000032
	ds_read_b64 v[168:169], v50 offset:28928                   // 0000000059BC: D8EC7100 A8000032
	ds_read_b64 v[170:171], v50 offset:29056                   // 0000000059C4: D8EC7180 AA000032
	ds_read_b64 v[172:173], v50 offset:29952                   // 0000000059CC: D8EC7500 AC000032
	ds_read_b64 v[174:175], v50 offset:30080                   // 0000000059D4: D8EC7580 AE000032
	s_add_u32 s12, s56, s12                                    // 0000000059DC: 800C0C38
	s_addc_u32 s13, 0, s13                                     // 0000000059E0: 820D0D80
	s_add_u32 s16, s79, s16                                    // 0000000059E4: 8010104F
	s_addc_u32 s17, 0, s17                                     // 0000000059E8: 82111180
	s_mov_b32 s80, 0                                           // 0000000059EC: BED00080
	s_waitcnt vmcnt(0) expcnt(0) lgkmcnt(0)                    // 0000000059F0: BF8C0000

00000000000059f4 <label_0BBD>:
	s_waitcnt vmcnt(37)                                        // 0000000059F4: BF8C8F75
	s_barrier                                                  // 0000000059F8: BF8A0000
	v_mfma_f32_16x16x32_fp8_fp8 v[176:179], a[0:1], v[128:129], 0// 0000000059FC: D3F300B0 0A030100
	v_mfma_f32_16x16x32_fp8_fp8 v[176:179], a[2:3], v[130:131], v[176:179]// 000000005A04: D3F300B0 0EC30502
	buffer_load_dwordx4 a[96:99], v40, s[12:15], 0 offen       // 000000005A0C: E05C1000 80836028
	v_mfma_f32_16x16x32_fp8_fp8 v[180:183], a[0:1], v[152:153], 0// 000000005A14: D3F300B4 0A033100
	v_mfma_f32_16x16x32_fp8_fp8 v[180:183], a[2:3], v[154:155], v[180:183]// 000000005A1C: D3F300B4 0ED33502
	v_mfma_f32_16x16x32_fp8_fp8 v[184:187], a[4:5], v[128:129], 0// 000000005A24: D3F300B8 0A030104
	v_mfma_f32_16x16x32_fp8_fp8 v[184:187], a[6:7], v[130:131], v[184:187]// 000000005A2C: D3F300B8 0EE30506
	buffer_load_dwordx4 a[100:103], v41, s[12:15], 0 offen     // 000000005A34: E05C1000 80836429
	v_mfma_f32_16x16x32_fp8_fp8 v[188:191], a[4:5], v[152:153], 0// 000000005A3C: D3F300BC 0A033104
	v_mfma_f32_16x16x32_fp8_fp8 v[188:191], a[6:7], v[154:155], v[188:191]// 000000005A44: D3F300BC 0EF33506
	v_mfma_f32_16x16x32_fp8_fp8 v[192:195], a[8:9], v[128:129], 0// 000000005A4C: D3F300C0 0A030108
	v_mfma_f32_16x16x32_fp8_fp8 v[192:195], a[10:11], v[130:131], v[192:195]// 000000005A54: D3F300C0 0F03050A
	buffer_load_dwordx4 a[104:107], v42, s[12:15], 0 offen     // 000000005A5C: E05C1000 8083682A
	v_mfma_f32_16x16x32_fp8_fp8 v[196:199], a[8:9], v[152:153], 0// 000000005A64: D3F300C4 0A033108
	v_mfma_f32_16x16x32_fp8_fp8 v[196:199], a[10:11], v[154:155], v[196:199]// 000000005A6C: D3F300C4 0F13350A
	v_mfma_f32_16x16x32_fp8_fp8 v[200:203], a[12:13], v[128:129], 0// 000000005A74: D3F300C8 0A03010C
	v_mfma_f32_16x16x32_fp8_fp8 v[200:203], a[14:15], v[130:131], v[200:203]// 000000005A7C: D3F300C8 0F23050E
	buffer_load_dwordx4 a[108:111], v43, s[12:15], 0 offen     // 000000005A84: E05C1000 80836C2B
	s_add_u32 s12, s78, s12                                    // 000000005A8C: 800C0C4E
	s_addc_u32 s13, 0, s13                                     // 000000005A90: 820D0D80
	v_mfma_f32_16x16x32_fp8_fp8 v[204:207], a[12:13], v[152:153], 0// 000000005A94: D3F300CC 0A03310C
	v_mfma_f32_16x16x32_fp8_fp8 v[204:207], a[14:15], v[154:155], v[204:207]// 000000005A9C: D3F300CC 0F33350E
	s_waitcnt vmcnt(37)                                        // 000000005AA4: BF8C8F75
	v_mfma_f32_16x16x32_fp8_fp8 v[176:179], a[16:17], v[132:133], v[176:179]// 000000005AA8: D3F300B0 0EC30910
	v_mfma_f32_16x16x32_fp8_fp8 v[176:179], a[18:19], v[134:135], v[176:179]// 000000005AB0: D3F300B0 0EC30D12
	buffer_load_dwordx4 a[112:115], v40, s[12:15], 0 offen     // 000000005AB8: E05C1000 80837028
	v_mfma_f32_16x16x32_fp8_fp8 v[180:183], a[16:17], v[156:157], v[180:183]// 000000005AC0: D3F300B4 0ED33910
	v_mfma_f32_16x16x32_fp8_fp8 v[180:183], a[18:19], v[158:159], v[180:183]// 000000005AC8: D3F300B4 0ED33D12
	v_mfma_f32_16x16x32_fp8_fp8 v[184:187], a[20:21], v[132:133], v[184:187]// 000000005AD0: D3F300B8 0EE30914
	v_mfma_f32_16x16x32_fp8_fp8 v[184:187], a[22:23], v[134:135], v[184:187]// 000000005AD8: D3F300B8 0EE30D16
	buffer_load_dwordx4 a[116:119], v41, s[12:15], 0 offen     // 000000005AE0: E05C1000 80837429
	v_mfma_f32_16x16x32_fp8_fp8 v[188:191], a[20:21], v[156:157], v[188:191]// 000000005AE8: D3F300BC 0EF33914
	v_mfma_f32_16x16x32_fp8_fp8 v[188:191], a[22:23], v[158:159], v[188:191]// 000000005AF0: D3F300BC 0EF33D16
	v_mfma_f32_16x16x32_fp8_fp8 v[192:195], a[24:25], v[132:133], v[192:195]// 000000005AF8: D3F300C0 0F030918
	v_mfma_f32_16x16x32_fp8_fp8 v[192:195], a[26:27], v[134:135], v[192:195]// 000000005B00: D3F300C0 0F030D1A
	buffer_load_dwordx4 a[120:123], v42, s[12:15], 0 offen     // 000000005B08: E05C1000 8083782A
	v_mfma_f32_16x16x32_fp8_fp8 v[196:199], a[24:25], v[156:157], v[196:199]// 000000005B10: D3F300C4 0F133918
	v_mfma_f32_16x16x32_fp8_fp8 v[196:199], a[26:27], v[158:159], v[196:199]// 000000005B18: D3F300C4 0F133D1A
	v_mfma_f32_16x16x32_fp8_fp8 v[200:203], a[28:29], v[132:133], v[200:203]// 000000005B20: D3F300C8 0F23091C
	v_mfma_f32_16x16x32_fp8_fp8 v[200:203], a[30:31], v[134:135], v[200:203]// 000000005B28: D3F300C8 0F230D1E
	buffer_load_dwordx4 a[124:127], v43, s[12:15], 0 offen     // 000000005B30: E05C1000 80837C2B
	s_add_u32 s12, s78, s12                                    // 000000005B38: 800C0C4E
	s_addc_u32 s13, 0, s13                                     // 000000005B3C: 820D0D80
	v_mfma_f32_16x16x32_fp8_fp8 v[204:207], a[28:29], v[156:157], v[204:207]// 000000005B40: D3F300CC 0F33391C
	v_mfma_f32_16x16x32_fp8_fp8 v[204:207], a[30:31], v[158:159], v[204:207]// 000000005B48: D3F300CC 0F333D1E
	s_waitcnt vmcnt(37)                                        // 000000005B50: BF8C8F75
	v_mfma_f32_16x16x32_fp8_fp8 v[176:179], a[32:33], v[136:137], v[176:179]// 000000005B54: D3F300B0 0EC31120
	v_mfma_f32_16x16x32_fp8_fp8 v[176:179], a[34:35], v[138:139], v[176:179]// 000000005B5C: D3F300B0 0EC31522
	buffer_load_dwordx4 a[128:131], v40, s[12:15], 0 offen     // 000000005B64: E05C1000 80838028
	v_mfma_f32_16x16x32_fp8_fp8 v[180:183], a[32:33], v[160:161], v[180:183]// 000000005B6C: D3F300B4 0ED34120
	v_mfma_f32_16x16x32_fp8_fp8 v[180:183], a[34:35], v[162:163], v[180:183]// 000000005B74: D3F300B4 0ED34522
	v_mfma_f32_16x16x32_fp8_fp8 v[184:187], a[36:37], v[136:137], v[184:187]// 000000005B7C: D3F300B8 0EE31124
	v_mfma_f32_16x16x32_fp8_fp8 v[184:187], a[38:39], v[138:139], v[184:187]// 000000005B84: D3F300B8 0EE31526
	buffer_load_dwordx4 a[132:135], v41, s[12:15], 0 offen     // 000000005B8C: E05C1000 80838429
	v_mfma_f32_16x16x32_fp8_fp8 v[188:191], a[36:37], v[160:161], v[188:191]// 000000005B94: D3F300BC 0EF34124
	v_mfma_f32_16x16x32_fp8_fp8 v[188:191], a[38:39], v[162:163], v[188:191]// 000000005B9C: D3F300BC 0EF34526
	v_mfma_f32_16x16x32_fp8_fp8 v[192:195], a[40:41], v[136:137], v[192:195]// 000000005BA4: D3F300C0 0F031128
	v_mfma_f32_16x16x32_fp8_fp8 v[192:195], a[42:43], v[138:139], v[192:195]// 000000005BAC: D3F300C0 0F03152A
	buffer_load_dwordx4 a[136:139], v42, s[12:15], 0 offen     // 000000005BB4: E05C1000 8083882A
	v_mfma_f32_16x16x32_fp8_fp8 v[196:199], a[40:41], v[160:161], v[196:199]// 000000005BBC: D3F300C4 0F134128
	v_mfma_f32_16x16x32_fp8_fp8 v[196:199], a[42:43], v[162:163], v[196:199]// 000000005BC4: D3F300C4 0F13452A
	v_mfma_f32_16x16x32_fp8_fp8 v[200:203], a[44:45], v[136:137], v[200:203]// 000000005BCC: D3F300C8 0F23112C
	v_mfma_f32_16x16x32_fp8_fp8 v[200:203], a[46:47], v[138:139], v[200:203]// 000000005BD4: D3F300C8 0F23152E
	buffer_load_dwordx4 a[140:143], v43, s[12:15], 0 offen     // 000000005BDC: E05C1000 80838C2B
	s_add_u32 s12, s78, s12                                    // 000000005BE4: 800C0C4E
	s_addc_u32 s13, 0, s13                                     // 000000005BE8: 820D0D80
	v_mfma_f32_16x16x32_fp8_fp8 v[204:207], a[44:45], v[160:161], v[204:207]// 000000005BEC: D3F300CC 0F33412C
	v_mfma_f32_16x16x32_fp8_fp8 v[204:207], a[46:47], v[162:163], v[204:207]// 000000005BF4: D3F300CC 0F33452E
	s_waitcnt vmcnt(37)                                        // 000000005BFC: BF8C8F75
	v_mfma_f32_16x16x32_fp8_fp8 v[176:179], a[48:49], v[140:141], v[176:179]// 000000005C00: D3F300B0 0EC31930
	v_mfma_f32_16x16x32_fp8_fp8 v[176:179], a[50:51], v[142:143], v[176:179]// 000000005C08: D3F300B0 0EC31D32
	buffer_load_dwordx4 a[144:147], v40, s[12:15], 0 offen     // 000000005C10: E05C1000 80839028
	v_mfma_f32_16x16x32_fp8_fp8 v[180:183], a[48:49], v[164:165], v[180:183]// 000000005C18: D3F300B4 0ED34930
	v_mfma_f32_16x16x32_fp8_fp8 v[180:183], a[50:51], v[166:167], v[180:183]// 000000005C20: D3F300B4 0ED34D32
	v_mfma_f32_16x16x32_fp8_fp8 v[184:187], a[52:53], v[140:141], v[184:187]// 000000005C28: D3F300B8 0EE31934
	v_mfma_f32_16x16x32_fp8_fp8 v[184:187], a[54:55], v[142:143], v[184:187]// 000000005C30: D3F300B8 0EE31D36
	buffer_load_dwordx4 a[148:151], v41, s[12:15], 0 offen     // 000000005C38: E05C1000 80839429
	v_mfma_f32_16x16x32_fp8_fp8 v[188:191], a[52:53], v[164:165], v[188:191]// 000000005C40: D3F300BC 0EF34934
	v_mfma_f32_16x16x32_fp8_fp8 v[188:191], a[54:55], v[166:167], v[188:191]// 000000005C48: D3F300BC 0EF34D36
	v_mfma_f32_16x16x32_fp8_fp8 v[192:195], a[56:57], v[140:141], v[192:195]// 000000005C50: D3F300C0 0F031938
	v_mfma_f32_16x16x32_fp8_fp8 v[192:195], a[58:59], v[142:143], v[192:195]// 000000005C58: D3F300C0 0F031D3A
	buffer_load_dwordx4 a[152:155], v42, s[12:15], 0 offen     // 000000005C60: E05C1000 8083982A
	v_mfma_f32_16x16x32_fp8_fp8 v[196:199], a[56:57], v[164:165], v[196:199]// 000000005C68: D3F300C4 0F134938
	v_mfma_f32_16x16x32_fp8_fp8 v[196:199], a[58:59], v[166:167], v[196:199]// 000000005C70: D3F300C4 0F134D3A
	v_mfma_f32_16x16x32_fp8_fp8 v[200:203], a[60:61], v[140:141], v[200:203]// 000000005C78: D3F300C8 0F23193C
	v_mfma_f32_16x16x32_fp8_fp8 v[200:203], a[62:63], v[142:143], v[200:203]// 000000005C80: D3F300C8 0F231D3E
	buffer_load_dwordx4 a[156:159], v43, s[12:15], 0 offen     // 000000005C88: E05C1000 80839C2B
	s_add_u32 s12, s78, s12                                    // 000000005C90: 800C0C4E
	s_addc_u32 s13, 0, s13                                     // 000000005C94: 820D0D80
	v_mfma_f32_16x16x32_fp8_fp8 v[204:207], a[60:61], v[164:165], v[204:207]// 000000005C98: D3F300CC 0F33493C
	v_mfma_f32_16x16x32_fp8_fp8 v[204:207], a[62:63], v[166:167], v[204:207]// 000000005CA0: D3F300CC 0F334D3E
	s_waitcnt vmcnt(37)                                        // 000000005CA8: BF8C8F75
	v_mfma_f32_16x16x32_fp8_fp8 v[176:179], a[64:65], v[144:145], v[176:179]// 000000005CAC: D3F300B0 0EC32140
	v_mfma_f32_16x16x32_fp8_fp8 v[176:179], a[66:67], v[146:147], v[176:179]// 000000005CB4: D3F300B0 0EC32542
	buffer_load_dwordx4 a[160:163], v40, s[12:15], 0 offen     // 000000005CBC: E05C1000 8083A028
	v_mfma_f32_16x16x32_fp8_fp8 v[180:183], a[64:65], v[168:169], v[180:183]// 000000005CC4: D3F300B4 0ED35140
	v_mfma_f32_16x16x32_fp8_fp8 v[180:183], a[66:67], v[170:171], v[180:183]// 000000005CCC: D3F300B4 0ED35542
	v_mfma_f32_16x16x32_fp8_fp8 v[184:187], a[68:69], v[144:145], v[184:187]// 000000005CD4: D3F300B8 0EE32144
	v_mfma_f32_16x16x32_fp8_fp8 v[184:187], a[70:71], v[146:147], v[184:187]// 000000005CDC: D3F300B8 0EE32546
	buffer_load_dwordx4 a[164:167], v41, s[12:15], 0 offen     // 000000005CE4: E05C1000 8083A429
	v_mfma_f32_16x16x32_fp8_fp8 v[188:191], a[68:69], v[168:169], v[188:191]// 000000005CEC: D3F300BC 0EF35144
	v_mfma_f32_16x16x32_fp8_fp8 v[188:191], a[70:71], v[170:171], v[188:191]// 000000005CF4: D3F300BC 0EF35546
	v_mfma_f32_16x16x32_fp8_fp8 v[192:195], a[72:73], v[144:145], v[192:195]// 000000005CFC: D3F300C0 0F032148
	v_mfma_f32_16x16x32_fp8_fp8 v[192:195], a[74:75], v[146:147], v[192:195]// 000000005D04: D3F300C0 0F03254A
	buffer_load_dwordx4 a[168:171], v42, s[12:15], 0 offen     // 000000005D0C: E05C1000 8083A82A
	v_mfma_f32_16x16x32_fp8_fp8 v[196:199], a[72:73], v[168:169], v[196:199]// 000000005D14: D3F300C4 0F135148
	v_mfma_f32_16x16x32_fp8_fp8 v[196:199], a[74:75], v[170:171], v[196:199]// 000000005D1C: D3F300C4 0F13554A
	v_mfma_f32_16x16x32_fp8_fp8 v[200:203], a[76:77], v[144:145], v[200:203]// 000000005D24: D3F300C8 0F23214C
	v_mfma_f32_16x16x32_fp8_fp8 v[200:203], a[78:79], v[146:147], v[200:203]// 000000005D2C: D3F300C8 0F23254E
	buffer_load_dwordx4 a[172:175], v43, s[12:15], 0 offen     // 000000005D34: E05C1000 8083AC2B
	s_add_u32 s12, s78, s12                                    // 000000005D3C: 800C0C4E
	s_addc_u32 s13, 0, s13                                     // 000000005D40: 820D0D80
	v_mfma_f32_16x16x32_fp8_fp8 v[204:207], a[76:77], v[168:169], v[204:207]// 000000005D44: D3F300CC 0F33514C
	v_mfma_f32_16x16x32_fp8_fp8 v[204:207], a[78:79], v[170:171], v[204:207]// 000000005D4C: D3F300CC 0F33554E
	s_waitcnt vmcnt(36)                                        // 000000005D54: BF8C8F74
	v_mfma_f32_16x16x32_fp8_fp8 v[176:179], a[80:81], v[148:149], v[176:179]// 000000005D58: D3F300B0 0EC32950
	v_mfma_f32_16x16x32_fp8_fp8 v[176:179], a[82:83], v[150:151], v[176:179]// 000000005D60: D3F300B0 0EC32D52
	buffer_load_dwordx4 a[176:179], v40, s[12:15], 0 offen     // 000000005D68: E05C1000 8083B028
	v_mfma_f32_16x16x32_fp8_fp8 v[180:183], a[80:81], v[172:173], v[180:183]// 000000005D70: D3F300B4 0ED35950
	v_mfma_f32_16x16x32_fp8_fp8 v[180:183], a[82:83], v[174:175], v[180:183]// 000000005D78: D3F300B4 0ED35D52
	buffer_load_dword v13, v5, s[16:19], 0 offen               // 000000005D80: E0501000 80040D05
	v_mfma_f32_16x16x32_fp8_fp8 v[184:187], a[84:85], v[148:149], v[184:187]// 000000005D88: D3F300B8 0EE32954
	v_mfma_f32_16x16x32_fp8_fp8 v[184:187], a[86:87], v[150:151], v[184:187]// 000000005D90: D3F300B8 0EE32D56
	buffer_load_dwordx4 a[180:183], v41, s[12:15], 0 offen     // 000000005D98: E05C1000 8083B429
	v_mfma_f32_16x16x32_fp8_fp8 v[188:191], a[84:85], v[172:173], v[188:191]// 000000005DA0: D3F300BC 0EF35954
	v_mfma_f32_16x16x32_fp8_fp8 v[188:191], a[86:87], v[174:175], v[188:191]// 000000005DA8: D3F300BC 0EF35D56
	v_mfma_f32_16x16x32_fp8_fp8 v[192:195], a[88:89], v[148:149], v[192:195]// 000000005DB0: D3F300C0 0F032958
	v_mfma_f32_16x16x32_fp8_fp8 v[192:195], a[90:91], v[150:151], v[192:195]// 000000005DB8: D3F300C0 0F032D5A
	buffer_load_dwordx4 a[184:187], v42, s[12:15], 0 offen     // 000000005DC0: E05C1000 8083B82A
	v_mfma_f32_16x16x32_fp8_fp8 v[196:199], a[88:89], v[172:173], v[196:199]// 000000005DC8: D3F300C4 0F135958
	v_mfma_f32_16x16x32_fp8_fp8 v[196:199], a[90:91], v[174:175], v[196:199]// 000000005DD0: D3F300C4 0F135D5A
	v_mfma_f32_16x16x32_fp8_fp8 v[200:203], a[92:93], v[148:149], v[200:203]// 000000005DD8: D3F300C8 0F23295C
	v_mfma_f32_16x16x32_fp8_fp8 v[200:203], a[94:95], v[150:151], v[200:203]// 000000005DE0: D3F300C8 0F232D5E
	buffer_load_dwordx4 a[188:191], v43, s[12:15], 0 offen     // 000000005DE8: E05C1000 8083BC2B
	v_mfma_f32_16x16x32_fp8_fp8 v[204:207], a[92:93], v[172:173], v[204:207]// 000000005DF0: D3F300CC 0F33595C
	v_mfma_f32_16x16x32_fp8_fp8 v[204:207], a[94:95], v[174:175], v[204:207]// 000000005DF8: D3F300CC 0F335D5E
	s_add_u32 s60, 0x200, s80                                  // 000000005E00: 803C50FF 00000200
	s_cmp_lt_u32 s60, s81                                      // 000000005E08: BF0A513C
	s_cselect_b32 s56, s56, 0                                  // 000000005E0C: 85388038
	s_cselect_b32 s78, s78, 0                                  // 000000005E10: 854E804E
	s_cselect_b32 s79, s79, 0                                  // 000000005E14: 854F804F
	s_add_u32 s12, s56, s12                                    // 000000005E18: 800C0C38
	s_addc_u32 s13, 0, s13                                     // 000000005E1C: 820D0D80
	s_add_u32 s16, s79, s16                                    // 000000005E20: 8010104F
	s_addc_u32 s17, 0, s17                                     // 000000005E24: 82111180
	v_mul_f32_e32 v176, v24, v176                              // 000000005E28: 0B616118
	v_mul_f32_e32 v177, v24, v177                              // 000000005E2C: 0B636318
	v_mul_f32_e32 v178, v24, v178                              // 000000005E30: 0B656518
	v_mul_f32_e32 v179, v24, v179                              // 000000005E34: 0B676718
	v_mul_f32_dpp v176, v12, v176 row_newbcast:0 row_mask:0xf bank_mask:0xf// 000000005E38: 0B6160FA FF01500C
	v_mul_f32_dpp v177, v12, v177 row_newbcast:1 row_mask:0xf bank_mask:0xf// 000000005E40: 0B6362FA FF01510C
	v_mul_f32_dpp v178, v12, v178 row_newbcast:2 row_mask:0xf bank_mask:0xf// 000000005E48: 0B6564FA FF01520C
	v_mul_f32_dpp v179, v12, v179 row_newbcast:3 row_mask:0xf bank_mask:0xf// 000000005E50: 0B6766FA FF01530C
	v_mul_f32_e32 v176, v20, v176                              // 000000005E58: 0B616114
	v_mul_f32_e32 v177, v20, v177                              // 000000005E5C: 0B636314
	v_mul_f32_e32 v178, v20, v178                              // 000000005E60: 0B656514
	v_mul_f32_e32 v179, v20, v179                              // 000000005E64: 0B676714
	v_mul_f32_e32 v180, v25, v180                              // 000000005E68: 0B696919
	v_mul_f32_e32 v181, v25, v181                              // 000000005E6C: 0B6B6B19
	v_mul_f32_e32 v182, v25, v182                              // 000000005E70: 0B6D6D19
	v_mul_f32_e32 v183, v25, v183                              // 000000005E74: 0B6F6F19
	v_mul_f32_dpp v180, v12, v180 row_newbcast:0 row_mask:0xf bank_mask:0xf// 000000005E78: 0B6968FA FF01500C
	v_mul_f32_dpp v181, v12, v181 row_newbcast:1 row_mask:0xf bank_mask:0xf// 000000005E80: 0B6B6AFA FF01510C
	v_mul_f32_dpp v182, v12, v182 row_newbcast:2 row_mask:0xf bank_mask:0xf// 000000005E88: 0B6D6CFA FF01520C
	v_mul_f32_dpp v183, v12, v183 row_newbcast:3 row_mask:0xf bank_mask:0xf// 000000005E90: 0B6F6EFA FF01530C
	v_mul_f32_e32 v180, v21, v180                              // 000000005E98: 0B696915
	v_mul_f32_e32 v181, v21, v181                              // 000000005E9C: 0B6B6B15
	v_mul_f32_e32 v182, v21, v182                              // 000000005EA0: 0B6D6D15
	v_mul_f32_e32 v183, v21, v183                              // 000000005EA4: 0B6F6F15
	v_mul_f32_e32 v184, v24, v184                              // 000000005EA8: 0B717118
	v_mul_f32_e32 v185, v24, v185                              // 000000005EAC: 0B737318
	v_mul_f32_e32 v186, v24, v186                              // 000000005EB0: 0B757518
	v_mul_f32_e32 v187, v24, v187                              // 000000005EB4: 0B777718
	v_mul_f32_dpp v184, v12, v184 row_newbcast:4 row_mask:0xf bank_mask:0xf// 000000005EB8: 0B7170FA FF01540C
	v_mul_f32_dpp v185, v12, v185 row_newbcast:5 row_mask:0xf bank_mask:0xf// 000000005EC0: 0B7372FA FF01550C
	v_mul_f32_dpp v186, v12, v186 row_newbcast:6 row_mask:0xf bank_mask:0xf// 000000005EC8: 0B7574FA FF01560C
	v_mul_f32_dpp v187, v12, v187 row_newbcast:7 row_mask:0xf bank_mask:0xf// 000000005ED0: 0B7776FA FF01570C
	v_mul_f32_e32 v184, v20, v184                              // 000000005ED8: 0B717114
	v_mul_f32_e32 v185, v20, v185                              // 000000005EDC: 0B737314
	v_mul_f32_e32 v186, v20, v186                              // 000000005EE0: 0B757514
	v_mul_f32_e32 v187, v20, v187                              // 000000005EE4: 0B777714
	v_mul_f32_e32 v188, v25, v188                              // 000000005EE8: 0B797919
	v_mul_f32_e32 v189, v25, v189                              // 000000005EEC: 0B7B7B19
	v_mul_f32_e32 v190, v25, v190                              // 000000005EF0: 0B7D7D19
	v_mul_f32_e32 v191, v25, v191                              // 000000005EF4: 0B7F7F19
	v_mul_f32_dpp v188, v12, v188 row_newbcast:4 row_mask:0xf bank_mask:0xf// 000000005EF8: 0B7978FA FF01540C
	v_mul_f32_dpp v189, v12, v189 row_newbcast:5 row_mask:0xf bank_mask:0xf// 000000005F00: 0B7B7AFA FF01550C
	v_mul_f32_dpp v190, v12, v190 row_newbcast:6 row_mask:0xf bank_mask:0xf// 000000005F08: 0B7D7CFA FF01560C
	v_mul_f32_dpp v191, v12, v191 row_newbcast:7 row_mask:0xf bank_mask:0xf// 000000005F10: 0B7F7EFA FF01570C
	v_mul_f32_e32 v188, v21, v188                              // 000000005F18: 0B797915
	v_mul_f32_e32 v189, v21, v189                              // 000000005F1C: 0B7B7B15
	v_mul_f32_e32 v190, v21, v190                              // 000000005F20: 0B7D7D15
	v_mul_f32_e32 v191, v21, v191                              // 000000005F24: 0B7F7F15
	v_mul_f32_e32 v192, v24, v192                              // 000000005F28: 0B818118
	v_mul_f32_e32 v193, v24, v193                              // 000000005F2C: 0B838318
	v_mul_f32_e32 v194, v24, v194                              // 000000005F30: 0B858518
	v_mul_f32_e32 v195, v24, v195                              // 000000005F34: 0B878718
	v_mul_f32_dpp v192, v12, v192 row_newbcast:8 row_mask:0xf bank_mask:0xf// 000000005F38: 0B8180FA FF01580C
	v_mul_f32_dpp v193, v12, v193 row_newbcast:9 row_mask:0xf bank_mask:0xf// 000000005F40: 0B8382FA FF01590C
	v_mul_f32_dpp v194, v12, v194 row_newbcast:10 row_mask:0xf bank_mask:0xf// 000000005F48: 0B8584FA FF015A0C
	v_mul_f32_dpp v195, v12, v195 row_newbcast:11 row_mask:0xf bank_mask:0xf// 000000005F50: 0B8786FA FF015B0C
	v_mul_f32_e32 v192, v20, v192                              // 000000005F58: 0B818114
	v_mul_f32_e32 v193, v20, v193                              // 000000005F5C: 0B838314
	v_mul_f32_e32 v194, v20, v194                              // 000000005F60: 0B858514
	v_mul_f32_e32 v195, v20, v195                              // 000000005F64: 0B878714
	v_mul_f32_e32 v196, v25, v196                              // 000000005F68: 0B898919
	v_mul_f32_e32 v197, v25, v197                              // 000000005F6C: 0B8B8B19
	v_mul_f32_e32 v198, v25, v198                              // 000000005F70: 0B8D8D19
	v_mul_f32_e32 v199, v25, v199                              // 000000005F74: 0B8F8F19
	v_mul_f32_dpp v196, v12, v196 row_newbcast:8 row_mask:0xf bank_mask:0xf// 000000005F78: 0B8988FA FF01580C
	v_mul_f32_dpp v197, v12, v197 row_newbcast:9 row_mask:0xf bank_mask:0xf// 000000005F80: 0B8B8AFA FF01590C
	v_mul_f32_dpp v198, v12, v198 row_newbcast:10 row_mask:0xf bank_mask:0xf// 000000005F88: 0B8D8CFA FF015A0C
	v_mul_f32_dpp v199, v12, v199 row_newbcast:11 row_mask:0xf bank_mask:0xf// 000000005F90: 0B8F8EFA FF015B0C
	v_mul_f32_e32 v196, v21, v196                              // 000000005F98: 0B898915
	v_mul_f32_e32 v197, v21, v197                              // 000000005F9C: 0B8B8B15
	v_mul_f32_e32 v198, v21, v198                              // 000000005FA0: 0B8D8D15
	v_mul_f32_e32 v199, v21, v199                              // 000000005FA4: 0B8F8F15
	v_mul_f32_e32 v200, v24, v200                              // 000000005FA8: 0B919118
	v_mul_f32_e32 v201, v24, v201                              // 000000005FAC: 0B939318
	v_mul_f32_e32 v202, v24, v202                              // 000000005FB0: 0B959518
	v_mul_f32_e32 v203, v24, v203                              // 000000005FB4: 0B979718
	v_mul_f32_dpp v200, v12, v200 row_newbcast:12 row_mask:0xf bank_mask:0xf// 000000005FB8: 0B9190FA FF015C0C
	v_mul_f32_dpp v201, v12, v201 row_newbcast:13 row_mask:0xf bank_mask:0xf// 000000005FC0: 0B9392FA FF015D0C
	v_mul_f32_dpp v202, v12, v202 row_newbcast:14 row_mask:0xf bank_mask:0xf// 000000005FC8: 0B9594FA FF015E0C
	v_mul_f32_dpp v203, v12, v203 row_newbcast:15 row_mask:0xf bank_mask:0xf// 000000005FD0: 0B9796FA FF015F0C
	v_mul_f32_e32 v200, v20, v200                              // 000000005FD8: 0B919114
	v_mul_f32_e32 v201, v20, v201                              // 000000005FDC: 0B939314
	v_mul_f32_e32 v202, v20, v202                              // 000000005FE0: 0B959514
	v_mul_f32_e32 v203, v20, v203                              // 000000005FE4: 0B979714
	v_mul_f32_e32 v204, v25, v204                              // 000000005FE8: 0B999919
	v_mul_f32_e32 v205, v25, v205                              // 000000005FEC: 0B9B9B19
	v_mul_f32_e32 v206, v25, v206                              // 000000005FF0: 0B9D9D19
	v_mul_f32_e32 v207, v25, v207                              // 000000005FF4: 0B9F9F19
	v_mul_f32_dpp v204, v12, v204 row_newbcast:12 row_mask:0xf bank_mask:0xf// 000000005FF8: 0B9998FA FF015C0C
	v_mul_f32_dpp v205, v12, v205 row_newbcast:13 row_mask:0xf bank_mask:0xf// 000000006000: 0B9B9AFA FF015D0C
	v_mul_f32_dpp v206, v12, v206 row_newbcast:14 row_mask:0xf bank_mask:0xf// 000000006008: 0B9D9CFA FF015E0C
	v_mul_f32_dpp v207, v12, v207 row_newbcast:15 row_mask:0xf bank_mask:0xf// 000000006010: 0B9F9EFA FF015F0C
	v_mul_f32_e32 v204, v21, v204                              // 000000006018: 0B999915
	v_mul_f32_e32 v205, v21, v205                              // 00000000601C: 0B9B9B15
	v_mul_f32_e32 v206, v21, v206                              // 000000006020: 0B9D9D15
	v_mul_f32_e32 v207, v21, v207                              // 000000006024: 0B9F9F15
	v_cmp_u_f32_e64 s[48:49], v176, v176                       // 000000006028: D0480030 000361B0
	v_add3_u32 v44, v176, v47, 1                               // 000000006030: D1FF002C 02065FB0
	v_cndmask_b32_e64 v50, v44, v46, s[48:49]                  // 000000006038: D1000032 00C25D2C
	v_cmp_u_f32_e64 s[48:49], v177, v177                       // 000000006040: D0480030 000363B1
	v_add3_u32 v44, v177, v47, 1                               // 000000006048: D1FF002C 02065FB1
	v_cndmask_b32_e64 v51, v44, v46, s[48:49]                  // 000000006050: D1000033 00C25D2C
	v_perm_b32 v176, v51, v50, s52                             // 000000006058: D1ED00B0 00D26533
	v_cmp_u_f32_e64 s[48:49], v178, v178                       // 000000006060: D0480030 000365B2
	v_add3_u32 v44, v178, v47, 1                               // 000000006068: D1FF002C 02065FB2
	v_cndmask_b32_e64 v50, v44, v46, s[48:49]                  // 000000006070: D1000032 00C25D2C
	v_cmp_u_f32_e64 s[48:49], v179, v179                       // 000000006078: D0480030 000367B3
	v_add3_u32 v44, v179, v47, 1                               // 000000006080: D1FF002C 02065FB3
	v_cndmask_b32_e64 v51, v44, v46, s[48:49]                  // 000000006088: D1000033 00C25D2C
	v_perm_b32 v177, v51, v50, s52                             // 000000006090: D1ED00B1 00D26533
	v_cmp_u_f32_e64 s[48:49], v180, v180                       // 000000006098: D0480030 000369B4
	v_add3_u32 v44, v180, v47, 1                               // 0000000060A0: D1FF002C 02065FB4
	v_cndmask_b32_e64 v50, v44, v46, s[48:49]                  // 0000000060A8: D1000032 00C25D2C
	v_cmp_u_f32_e64 s[48:49], v181, v181                       // 0000000060B0: D0480030 00036BB5
	v_add3_u32 v44, v181, v47, 1                               // 0000000060B8: D1FF002C 02065FB5
	v_cndmask_b32_e64 v51, v44, v46, s[48:49]                  // 0000000060C0: D1000033 00C25D2C
	v_perm_b32 v178, v51, v50, s52                             // 0000000060C8: D1ED00B2 00D26533
	v_cmp_u_f32_e64 s[48:49], v182, v182                       // 0000000060D0: D0480030 00036DB6
	v_add3_u32 v44, v182, v47, 1                               // 0000000060D8: D1FF002C 02065FB6
	v_cndmask_b32_e64 v50, v44, v46, s[48:49]                  // 0000000060E0: D1000032 00C25D2C
	v_cmp_u_f32_e64 s[48:49], v183, v183                       // 0000000060E8: D0480030 00036FB7
	v_add3_u32 v44, v183, v47, 1                               // 0000000060F0: D1FF002C 02065FB7
	v_cndmask_b32_e64 v51, v44, v46, s[48:49]                  // 0000000060F8: D1000033 00C25D2C
	v_perm_b32 v179, v51, v50, s52                             // 000000006100: D1ED00B3 00D26533
	v_cmp_u_f32_e64 s[48:49], v184, v184                       // 000000006108: D0480030 000371B8
	v_add3_u32 v44, v184, v47, 1                               // 000000006110: D1FF002C 02065FB8
	v_cndmask_b32_e64 v50, v44, v46, s[48:49]                  // 000000006118: D1000032 00C25D2C
	v_cmp_u_f32_e64 s[48:49], v185, v185                       // 000000006120: D0480030 000373B9
	v_add3_u32 v44, v185, v47, 1                               // 000000006128: D1FF002C 02065FB9
	v_cndmask_b32_e64 v51, v44, v46, s[48:49]                  // 000000006130: D1000033 00C25D2C
	v_perm_b32 v180, v51, v50, s52                             // 000000006138: D1ED00B4 00D26533
	v_cmp_u_f32_e64 s[48:49], v186, v186                       // 000000006140: D0480030 000375BA
	v_add3_u32 v44, v186, v47, 1                               // 000000006148: D1FF002C 02065FBA
	v_cndmask_b32_e64 v50, v44, v46, s[48:49]                  // 000000006150: D1000032 00C25D2C
	v_cmp_u_f32_e64 s[48:49], v187, v187                       // 000000006158: D0480030 000377BB
	v_add3_u32 v44, v187, v47, 1                               // 000000006160: D1FF002C 02065FBB
	v_cndmask_b32_e64 v51, v44, v46, s[48:49]                  // 000000006168: D1000033 00C25D2C
	v_perm_b32 v181, v51, v50, s52                             // 000000006170: D1ED00B5 00D26533
	v_cmp_u_f32_e64 s[48:49], v188, v188                       // 000000006178: D0480030 000379BC
	v_add3_u32 v44, v188, v47, 1                               // 000000006180: D1FF002C 02065FBC
	v_cndmask_b32_e64 v50, v44, v46, s[48:49]                  // 000000006188: D1000032 00C25D2C
	v_cmp_u_f32_e64 s[48:49], v189, v189                       // 000000006190: D0480030 00037BBD
	v_add3_u32 v44, v189, v47, 1                               // 000000006198: D1FF002C 02065FBD
	v_cndmask_b32_e64 v51, v44, v46, s[48:49]                  // 0000000061A0: D1000033 00C25D2C
	v_perm_b32 v182, v51, v50, s52                             // 0000000061A8: D1ED00B6 00D26533
	v_cmp_u_f32_e64 s[48:49], v190, v190                       // 0000000061B0: D0480030 00037DBE
	v_add3_u32 v44, v190, v47, 1                               // 0000000061B8: D1FF002C 02065FBE
	v_cndmask_b32_e64 v50, v44, v46, s[48:49]                  // 0000000061C0: D1000032 00C25D2C
	v_cmp_u_f32_e64 s[48:49], v191, v191                       // 0000000061C8: D0480030 00037FBF
	v_add3_u32 v44, v191, v47, 1                               // 0000000061D0: D1FF002C 02065FBF
	v_cndmask_b32_e64 v51, v44, v46, s[48:49]                  // 0000000061D8: D1000033 00C25D2C
	v_perm_b32 v183, v51, v50, s52                             // 0000000061E0: D1ED00B7 00D26533
	v_cmp_u_f32_e64 s[48:49], v192, v192                       // 0000000061E8: D0480030 000381C0
	v_add3_u32 v44, v192, v47, 1                               // 0000000061F0: D1FF002C 02065FC0
	v_cndmask_b32_e64 v50, v44, v46, s[48:49]                  // 0000000061F8: D1000032 00C25D2C
	v_cmp_u_f32_e64 s[48:49], v193, v193                       // 000000006200: D0480030 000383C1
	v_add3_u32 v44, v193, v47, 1                               // 000000006208: D1FF002C 02065FC1
	v_cndmask_b32_e64 v51, v44, v46, s[48:49]                  // 000000006210: D1000033 00C25D2C
	v_perm_b32 v184, v51, v50, s52                             // 000000006218: D1ED00B8 00D26533
	v_cmp_u_f32_e64 s[48:49], v194, v194                       // 000000006220: D0480030 000385C2
	v_add3_u32 v44, v194, v47, 1                               // 000000006228: D1FF002C 02065FC2
	v_cndmask_b32_e64 v50, v44, v46, s[48:49]                  // 000000006230: D1000032 00C25D2C
	v_cmp_u_f32_e64 s[48:49], v195, v195                       // 000000006238: D0480030 000387C3
	v_add3_u32 v44, v195, v47, 1                               // 000000006240: D1FF002C 02065FC3
	v_cndmask_b32_e64 v51, v44, v46, s[48:49]                  // 000000006248: D1000033 00C25D2C
	v_perm_b32 v185, v51, v50, s52                             // 000000006250: D1ED00B9 00D26533
	v_cmp_u_f32_e64 s[48:49], v196, v196                       // 000000006258: D0480030 000389C4
	v_add3_u32 v44, v196, v47, 1                               // 000000006260: D1FF002C 02065FC4
	v_cndmask_b32_e64 v50, v44, v46, s[48:49]                  // 000000006268: D1000032 00C25D2C
	v_cmp_u_f32_e64 s[48:49], v197, v197                       // 000000006270: D0480030 00038BC5
	v_add3_u32 v44, v197, v47, 1                               // 000000006278: D1FF002C 02065FC5
	v_cndmask_b32_e64 v51, v44, v46, s[48:49]                  // 000000006280: D1000033 00C25D2C
	v_perm_b32 v186, v51, v50, s52                             // 000000006288: D1ED00BA 00D26533
	v_cmp_u_f32_e64 s[48:49], v198, v198                       // 000000006290: D0480030 00038DC6
	v_add3_u32 v44, v198, v47, 1                               // 000000006298: D1FF002C 02065FC6
	v_cndmask_b32_e64 v50, v44, v46, s[48:49]                  // 0000000062A0: D1000032 00C25D2C
	v_cmp_u_f32_e64 s[48:49], v199, v199                       // 0000000062A8: D0480030 00038FC7
	v_add3_u32 v44, v199, v47, 1                               // 0000000062B0: D1FF002C 02065FC7
	v_cndmask_b32_e64 v51, v44, v46, s[48:49]                  // 0000000062B8: D1000033 00C25D2C
	v_perm_b32 v187, v51, v50, s52                             // 0000000062C0: D1ED00BB 00D26533
	v_cmp_u_f32_e64 s[48:49], v200, v200                       // 0000000062C8: D0480030 000391C8
	v_add3_u32 v44, v200, v47, 1                               // 0000000062D0: D1FF002C 02065FC8
	v_cndmask_b32_e64 v50, v44, v46, s[48:49]                  // 0000000062D8: D1000032 00C25D2C
	v_cmp_u_f32_e64 s[48:49], v201, v201                       // 0000000062E0: D0480030 000393C9
	v_add3_u32 v44, v201, v47, 1                               // 0000000062E8: D1FF002C 02065FC9
	v_cndmask_b32_e64 v51, v44, v46, s[48:49]                  // 0000000062F0: D1000033 00C25D2C
	v_perm_b32 v188, v51, v50, s52                             // 0000000062F8: D1ED00BC 00D26533
	v_cmp_u_f32_e64 s[48:49], v202, v202                       // 000000006300: D0480030 000395CA
	v_add3_u32 v44, v202, v47, 1                               // 000000006308: D1FF002C 02065FCA
	v_cndmask_b32_e64 v50, v44, v46, s[48:49]                  // 000000006310: D1000032 00C25D2C
	v_cmp_u_f32_e64 s[48:49], v203, v203                       // 000000006318: D0480030 000397CB
	v_add3_u32 v44, v203, v47, 1                               // 000000006320: D1FF002C 02065FCB
	v_cndmask_b32_e64 v51, v44, v46, s[48:49]                  // 000000006328: D1000033 00C25D2C
	v_perm_b32 v189, v51, v50, s52                             // 000000006330: D1ED00BD 00D26533
	v_cmp_u_f32_e64 s[48:49], v204, v204                       // 000000006338: D0480030 000399CC
	v_add3_u32 v44, v204, v47, 1                               // 000000006340: D1FF002C 02065FCC
	v_cndmask_b32_e64 v50, v44, v46, s[48:49]                  // 000000006348: D1000032 00C25D2C
	v_cmp_u_f32_e64 s[48:49], v205, v205                       // 000000006350: D0480030 00039BCD
	v_add3_u32 v44, v205, v47, 1                               // 000000006358: D1FF002C 02065FCD
	v_cndmask_b32_e64 v51, v44, v46, s[48:49]                  // 000000006360: D1000033 00C25D2C
	v_perm_b32 v190, v51, v50, s52                             // 000000006368: D1ED00BE 00D26533
	v_cmp_u_f32_e64 s[48:49], v206, v206                       // 000000006370: D0480030 00039DCE
	v_add3_u32 v44, v206, v47, 1                               // 000000006378: D1FF002C 02065FCE
	v_cndmask_b32_e64 v50, v44, v46, s[48:49]                  // 000000006380: D1000032 00C25D2C
	v_cmp_u_f32_e64 s[48:49], v207, v207                       // 000000006388: D0480030 00039FCF
	v_add3_u32 v44, v207, v47, 1                               // 000000006390: D1FF002C 02065FCF
	v_cndmask_b32_e64 v51, v44, v46, s[48:49]                  // 000000006398: D1000033 00C25D2C
	v_perm_b32 v191, v51, v50, s52                             // 0000000063A0: D1ED00BF 00D26533
	ds_write_b64 v3, v[176:177] offset:30976                   // 0000000063A8: D89A7900 0000B003
	ds_write_b64 v3, v[178:179] offset:39680                   // 0000000063B0: D89A9B00 0000B203
	ds_write_b64 v3, v[180:181] offset:33152                   // 0000000063B8: D89A8180 0000B403
	ds_write_b64 v3, v[182:183] offset:41856                   // 0000000063C0: D89AA380 0000B603
	ds_write_b64 v3, v[184:185] offset:35328                   // 0000000063C8: D89A8A00 0000B803
	ds_write_b64 v3, v[186:187] offset:44032                   // 0000000063D0: D89AAC00 0000BA03
	ds_write_b64 v3, v[188:189] offset:37504                   // 0000000063D8: D89A9280 0000BC03
	ds_write_b64 v3, v[190:191] offset:46208                   // 0000000063E0: D89AB480 0000BE03
	s_waitcnt lgkmcnt(0)                                       // 0000000063E8: BF8CC07F
	s_barrier                                                  // 0000000063EC: BF8A0000
	ds_read_b32 v64, v4 offset:30976                           // 0000000063F0: D86C7900 40000004
	ds_read_b32 v65, v4 offset:35328                           // 0000000063F8: D86C8A00 41000004
	ds_read_b32 v66, v4 offset:31008                           // 000000006400: D86C7920 42000004
	ds_read_b32 v67, v4 offset:35360                           // 000000006408: D86C8A20 43000004
	ds_read_b32 v68, v4 offset:31040                           // 000000006410: D86C7940 44000004
	ds_read_b32 v69, v4 offset:35392                           // 000000006418: D86C8A40 45000004
	ds_read_b32 v70, v4 offset:31072                           // 000000006420: D86C7960 46000004
	ds_read_b32 v71, v4 offset:35424                           // 000000006428: D86C8A60 47000004
	ds_read_b32 v72, v4 offset:39680                           // 000000006430: D86C9B00 48000004
	ds_read_b32 v73, v4 offset:44032                           // 000000006438: D86CAC00 49000004
	ds_read_b32 v74, v4 offset:39712                           // 000000006440: D86C9B20 4A000004
	ds_read_b32 v75, v4 offset:44064                           // 000000006448: D86CAC20 4B000004
	ds_read_b32 v76, v4 offset:39744                           // 000000006450: D86C9B40 4C000004
	ds_read_b32 v77, v4 offset:44096                           // 000000006458: D86CAC40 4D000004
	ds_read_b32 v78, v4 offset:39776                           // 000000006460: D86C9B60 4E000004
	ds_read_b32 v79, v4 offset:44128                           // 000000006468: D86CAC60 4F000004
	s_waitcnt lgkmcnt(0)                                       // 000000006470: BF8CC07F
	s_mov_b64 exec, s[20:21]                                   // 000000006474: BEFE0114
	global_atomic_pk_add_bf16 v80, v64, s[8:9]                 // 000000006478: DD488000 00084050
	s_mov_b64 exec, s[36:37]                                   // 000000006480: BEFE0124
	s_mov_b64 exec, s[20:21]                                   // 000000006484: BEFE0114
	global_atomic_pk_add_bf16 v80, v65, s[8:9] offset:256      // 000000006488: DD488100 00084150
	s_mov_b64 exec, s[36:37]                                   // 000000006490: BEFE0124
	s_mov_b64 exec, s[22:23]                                   // 000000006494: BEFE0116
	global_atomic_pk_add_bf16 v82, v66, s[8:9]                 // 000000006498: DD488000 00084252
	s_mov_b64 exec, s[36:37]                                   // 0000000064A0: BEFE0124
	s_mov_b64 exec, s[22:23]                                   // 0000000064A4: BEFE0116
	global_atomic_pk_add_bf16 v82, v67, s[8:9] offset:256      // 0000000064A8: DD488100 00084352
	s_mov_b64 exec, s[36:37]                                   // 0000000064B0: BEFE0124
	s_mov_b64 exec, s[24:25]                                   // 0000000064B4: BEFE0118
	global_atomic_pk_add_bf16 v84, v68, s[8:9]                 // 0000000064B8: DD488000 00084454
	s_mov_b64 exec, s[36:37]                                   // 0000000064C0: BEFE0124
	s_mov_b64 exec, s[24:25]                                   // 0000000064C4: BEFE0118
	global_atomic_pk_add_bf16 v84, v69, s[8:9] offset:256      // 0000000064C8: DD488100 00084554
	s_mov_b64 exec, s[36:37]                                   // 0000000064D0: BEFE0124
	s_mov_b64 exec, s[26:27]                                   // 0000000064D4: BEFE011A
	global_atomic_pk_add_bf16 v86, v70, s[8:9]                 // 0000000064D8: DD488000 00084656
	s_mov_b64 exec, s[36:37]                                   // 0000000064E0: BEFE0124
	s_mov_b64 exec, s[26:27]                                   // 0000000064E4: BEFE011A
	global_atomic_pk_add_bf16 v86, v71, s[8:9] offset:256      // 0000000064E8: DD488100 00084756
	s_mov_b64 exec, s[36:37]                                   // 0000000064F0: BEFE0124
	s_mov_b64 exec, s[28:29]                                   // 0000000064F4: BEFE011C
	global_atomic_pk_add_bf16 v88, v72, s[8:9]                 // 0000000064F8: DD488000 00084858
	s_mov_b64 exec, s[36:37]                                   // 000000006500: BEFE0124
	s_mov_b64 exec, s[28:29]                                   // 000000006504: BEFE011C
	global_atomic_pk_add_bf16 v88, v73, s[8:9] offset:256      // 000000006508: DD488100 00084958
	s_mov_b64 exec, s[36:37]                                   // 000000006510: BEFE0124
	s_mov_b64 exec, s[30:31]                                   // 000000006514: BEFE011E
	global_atomic_pk_add_bf16 v90, v74, s[8:9]                 // 000000006518: DD488000 00084A5A
	s_mov_b64 exec, s[36:37]                                   // 000000006520: BEFE0124
	s_mov_b64 exec, s[30:31]                                   // 000000006524: BEFE011E
	global_atomic_pk_add_bf16 v90, v75, s[8:9] offset:256      // 000000006528: DD488100 00084B5A
	s_mov_b64 exec, s[36:37]                                   // 000000006530: BEFE0124
	s_mov_b64 exec, s[32:33]                                   // 000000006534: BEFE0120
	global_atomic_pk_add_bf16 v92, v76, s[8:9]                 // 000000006538: DD488000 00084C5C
	s_mov_b64 exec, s[36:37]                                   // 000000006540: BEFE0124
	s_mov_b64 exec, s[32:33]                                   // 000000006544: BEFE0120
	global_atomic_pk_add_bf16 v92, v77, s[8:9] offset:256      // 000000006548: DD488100 00084D5C
	s_mov_b64 exec, s[36:37]                                   // 000000006550: BEFE0124
	s_mov_b64 exec, s[34:35]                                   // 000000006554: BEFE0122
	global_atomic_pk_add_bf16 v94, v78, s[8:9]                 // 000000006558: DD488000 00084E5E
	s_mov_b64 exec, s[36:37]                                   // 000000006560: BEFE0124
	s_mov_b64 exec, s[34:35]                                   // 000000006564: BEFE0122
	global_atomic_pk_add_bf16 v94, v79, s[8:9] offset:256      // 000000006568: DD488100 00084F5E
	s_mov_b64 exec, s[36:37]                                   // 000000006570: BEFE0124
	s_add_u32 s8, s59, s8                                      // 000000006574: 8008083B
	s_addc_u32 s9, 0, s9                                       // 000000006578: 82090980
	s_addk_i32 s80, 0x100                                      // 00000000657C: B7500100
	s_cmp_lt_i32 s80, s81                                      // 000000006580: BF045150
	s_cbranch_scc0 label_1188                                  // 000000006584: BF8402E6
	s_waitcnt vmcnt(37)                                        // 000000006588: BF8C8F75
	s_barrier                                                  // 00000000658C: BF8A0000
	v_mfma_f32_16x16x32_fp8_fp8 v[208:211], a[96:97], v[128:129], 0// 000000006590: D3F300D0 0A030160
	v_mfma_f32_16x16x32_fp8_fp8 v[208:211], a[98:99], v[130:131], v[208:211]// 000000006598: D3F300D0 0F430562
	buffer_load_dwordx4 a[0:3], v40, s[12:15], 0 offen         // 0000000065A0: E05C1000 80830028
	v_mfma_f32_16x16x32_fp8_fp8 v[212:215], a[96:97], v[152:153], 0// 0000000065A8: D3F300D4 0A033160
	v_mfma_f32_16x16x32_fp8_fp8 v[212:215], a[98:99], v[154:155], v[212:215]// 0000000065B0: D3F300D4 0F533562
	v_mfma_f32_16x16x32_fp8_fp8 v[216:219], a[100:101], v[128:129], 0// 0000000065B8: D3F300D8 0A030164
	v_mfma_f32_16x16x32_fp8_fp8 v[216:219], a[102:103], v[130:131], v[216:219]// 0000000065C0: D3F300D8 0F630566
	buffer_load_dwordx4 a[4:7], v41, s[12:15], 0 offen         // 0000000065C8: E05C1000 80830429
	v_mfma_f32_16x16x32_fp8_fp8 v[220:223], a[100:101], v[152:153], 0// 0000000065D0: D3F300DC 0A033164
	v_mfma_f32_16x16x32_fp8_fp8 v[220:223], a[102:103], v[154:155], v[220:223]// 0000000065D8: D3F300DC 0F733566
	v_mfma_f32_16x16x32_fp8_fp8 v[224:227], a[104:105], v[128:129], 0// 0000000065E0: D3F300E0 0A030168
	v_mfma_f32_16x16x32_fp8_fp8 v[224:227], a[106:107], v[130:131], v[224:227]// 0000000065E8: D3F300E0 0F83056A
	buffer_load_dwordx4 a[8:11], v42, s[12:15], 0 offen        // 0000000065F0: E05C1000 8083082A
	v_mfma_f32_16x16x32_fp8_fp8 v[228:231], a[104:105], v[152:153], 0// 0000000065F8: D3F300E4 0A033168
	v_mfma_f32_16x16x32_fp8_fp8 v[228:231], a[106:107], v[154:155], v[228:231]// 000000006600: D3F300E4 0F93356A
	v_mfma_f32_16x16x32_fp8_fp8 v[232:235], a[108:109], v[128:129], 0// 000000006608: D3F300E8 0A03016C
	v_mfma_f32_16x16x32_fp8_fp8 v[232:235], a[110:111], v[130:131], v[232:235]// 000000006610: D3F300E8 0FA3056E
	buffer_load_dwordx4 a[12:15], v43, s[12:15], 0 offen       // 000000006618: E05C1000 80830C2B
	s_add_u32 s12, s78, s12                                    // 000000006620: 800C0C4E
	s_addc_u32 s13, 0, s13                                     // 000000006624: 820D0D80
	v_mfma_f32_16x16x32_fp8_fp8 v[236:239], a[108:109], v[152:153], 0// 000000006628: D3F300EC 0A03316C
	v_mfma_f32_16x16x32_fp8_fp8 v[236:239], a[110:111], v[154:155], v[236:239]// 000000006630: D3F300EC 0FB3356E
	s_waitcnt vmcnt(37)                                        // 000000006638: BF8C8F75
	v_mfma_f32_16x16x32_fp8_fp8 v[208:211], a[112:113], v[132:133], v[208:211]// 00000000663C: D3F300D0 0F430970
	v_mfma_f32_16x16x32_fp8_fp8 v[208:211], a[114:115], v[134:135], v[208:211]// 000000006644: D3F300D0 0F430D72
	buffer_load_dwordx4 a[16:19], v40, s[12:15], 0 offen       // 00000000664C: E05C1000 80831028
	v_mfma_f32_16x16x32_fp8_fp8 v[212:215], a[112:113], v[156:157], v[212:215]// 000000006654: D3F300D4 0F533970
	v_mfma_f32_16x16x32_fp8_fp8 v[212:215], a[114:115], v[158:159], v[212:215]// 00000000665C: D3F300D4 0F533D72
	v_mfma_f32_16x16x32_fp8_fp8 v[216:219], a[116:117], v[132:133], v[216:219]// 000000006664: D3F300D8 0F630974
	v_mfma_f32_16x16x32_fp8_fp8 v[216:219], a[118:119], v[134:135], v[216:219]// 00000000666C: D3F300D8 0F630D76
	buffer_load_dwordx4 a[20:23], v41, s[12:15], 0 offen       // 000000006674: E05C1000 80831429
	v_mfma_f32_16x16x32_fp8_fp8 v[220:223], a[116:117], v[156:157], v[220:223]// 00000000667C: D3F300DC 0F733974
	v_mfma_f32_16x16x32_fp8_fp8 v[220:223], a[118:119], v[158:159], v[220:223]// 000000006684: D3F300DC 0F733D76
	v_mfma_f32_16x16x32_fp8_fp8 v[224:227], a[120:121], v[132:133], v[224:227]// 00000000668C: D3F300E0 0F830978
	v_mfma_f32_16x16x32_fp8_fp8 v[224:227], a[122:123], v[134:135], v[224:227]// 000000006694: D3F300E0 0F830D7A
	buffer_load_dwordx4 a[24:27], v42, s[12:15], 0 offen       // 00000000669C: E05C1000 8083182A
	v_mfma_f32_16x16x32_fp8_fp8 v[228:231], a[120:121], v[156:157], v[228:231]// 0000000066A4: D3F300E4 0F933978
	v_mfma_f32_16x16x32_fp8_fp8 v[228:231], a[122:123], v[158:159], v[228:231]// 0000000066AC: D3F300E4 0F933D7A
	v_mfma_f32_16x16x32_fp8_fp8 v[232:235], a[124:125], v[132:133], v[232:235]// 0000000066B4: D3F300E8 0FA3097C
	v_mfma_f32_16x16x32_fp8_fp8 v[232:235], a[126:127], v[134:135], v[232:235]// 0000000066BC: D3F300E8 0FA30D7E
	buffer_load_dwordx4 a[28:31], v43, s[12:15], 0 offen       // 0000000066C4: E05C1000 80831C2B
	s_add_u32 s12, s78, s12                                    // 0000000066CC: 800C0C4E
	s_addc_u32 s13, 0, s13                                     // 0000000066D0: 820D0D80
	v_mfma_f32_16x16x32_fp8_fp8 v[236:239], a[124:125], v[156:157], v[236:239]// 0000000066D4: D3F300EC 0FB3397C
	v_mfma_f32_16x16x32_fp8_fp8 v[236:239], a[126:127], v[158:159], v[236:239]// 0000000066DC: D3F300EC 0FB33D7E
	s_waitcnt vmcnt(37)                                        // 0000000066E4: BF8C8F75
	v_mfma_f32_16x16x32_fp8_fp8 v[208:211], a[128:129], v[136:137], v[208:211]// 0000000066E8: D3F300D0 0F431180
	v_mfma_f32_16x16x32_fp8_fp8 v[208:211], a[130:131], v[138:139], v[208:211]// 0000000066F0: D3F300D0 0F431582
	buffer_load_dwordx4 a[32:35], v40, s[12:15], 0 offen       // 0000000066F8: E05C1000 80832028
	v_mfma_f32_16x16x32_fp8_fp8 v[212:215], a[128:129], v[160:161], v[212:215]// 000000006700: D3F300D4 0F534180
	v_mfma_f32_16x16x32_fp8_fp8 v[212:215], a[130:131], v[162:163], v[212:215]// 000000006708: D3F300D4 0F534582
	v_mfma_f32_16x16x32_fp8_fp8 v[216:219], a[132:133], v[136:137], v[216:219]// 000000006710: D3F300D8 0F631184
	v_mfma_f32_16x16x32_fp8_fp8 v[216:219], a[134:135], v[138:139], v[216:219]// 000000006718: D3F300D8 0F631586
	buffer_load_dwordx4 a[36:39], v41, s[12:15], 0 offen       // 000000006720: E05C1000 80832429
	v_mfma_f32_16x16x32_fp8_fp8 v[220:223], a[132:133], v[160:161], v[220:223]// 000000006728: D3F300DC 0F734184
	v_mfma_f32_16x16x32_fp8_fp8 v[220:223], a[134:135], v[162:163], v[220:223]// 000000006730: D3F300DC 0F734586
	v_mfma_f32_16x16x32_fp8_fp8 v[224:227], a[136:137], v[136:137], v[224:227]// 000000006738: D3F300E0 0F831188
	v_mfma_f32_16x16x32_fp8_fp8 v[224:227], a[138:139], v[138:139], v[224:227]// 000000006740: D3F300E0 0F83158A
	buffer_load_dwordx4 a[40:43], v42, s[12:15], 0 offen       // 000000006748: E05C1000 8083282A
	v_mfma_f32_16x16x32_fp8_fp8 v[228:231], a[136:137], v[160:161], v[228:231]// 000000006750: D3F300E4 0F934188
	v_mfma_f32_16x16x32_fp8_fp8 v[228:231], a[138:139], v[162:163], v[228:231]// 000000006758: D3F300E4 0F93458A
	v_mfma_f32_16x16x32_fp8_fp8 v[232:235], a[140:141], v[136:137], v[232:235]// 000000006760: D3F300E8 0FA3118C
	v_mfma_f32_16x16x32_fp8_fp8 v[232:235], a[142:143], v[138:139], v[232:235]// 000000006768: D3F300E8 0FA3158E
	buffer_load_dwordx4 a[44:47], v43, s[12:15], 0 offen       // 000000006770: E05C1000 80832C2B
	s_add_u32 s12, s78, s12                                    // 000000006778: 800C0C4E
	s_addc_u32 s13, 0, s13                                     // 00000000677C: 820D0D80
	v_mfma_f32_16x16x32_fp8_fp8 v[236:239], a[140:141], v[160:161], v[236:239]// 000000006780: D3F300EC 0FB3418C
	v_mfma_f32_16x16x32_fp8_fp8 v[236:239], a[142:143], v[162:163], v[236:239]// 000000006788: D3F300EC 0FB3458E
	s_waitcnt vmcnt(37)                                        // 000000006790: BF8C8F75
	v_mfma_f32_16x16x32_fp8_fp8 v[208:211], a[144:145], v[140:141], v[208:211]// 000000006794: D3F300D0 0F431990
	v_mfma_f32_16x16x32_fp8_fp8 v[208:211], a[146:147], v[142:143], v[208:211]// 00000000679C: D3F300D0 0F431D92
	buffer_load_dwordx4 a[48:51], v40, s[12:15], 0 offen       // 0000000067A4: E05C1000 80833028
	v_mfma_f32_16x16x32_fp8_fp8 v[212:215], a[144:145], v[164:165], v[212:215]// 0000000067AC: D3F300D4 0F534990
	v_mfma_f32_16x16x32_fp8_fp8 v[212:215], a[146:147], v[166:167], v[212:215]// 0000000067B4: D3F300D4 0F534D92
	v_mfma_f32_16x16x32_fp8_fp8 v[216:219], a[148:149], v[140:141], v[216:219]// 0000000067BC: D3F300D8 0F631994
	v_mfma_f32_16x16x32_fp8_fp8 v[216:219], a[150:151], v[142:143], v[216:219]// 0000000067C4: D3F300D8 0F631D96
	buffer_load_dwordx4 a[52:55], v41, s[12:15], 0 offen       // 0000000067CC: E05C1000 80833429
	v_mfma_f32_16x16x32_fp8_fp8 v[220:223], a[148:149], v[164:165], v[220:223]// 0000000067D4: D3F300DC 0F734994
	v_mfma_f32_16x16x32_fp8_fp8 v[220:223], a[150:151], v[166:167], v[220:223]// 0000000067DC: D3F300DC 0F734D96
	v_mfma_f32_16x16x32_fp8_fp8 v[224:227], a[152:153], v[140:141], v[224:227]// 0000000067E4: D3F300E0 0F831998
	v_mfma_f32_16x16x32_fp8_fp8 v[224:227], a[154:155], v[142:143], v[224:227]// 0000000067EC: D3F300E0 0F831D9A
	buffer_load_dwordx4 a[56:59], v42, s[12:15], 0 offen       // 0000000067F4: E05C1000 8083382A
	v_mfma_f32_16x16x32_fp8_fp8 v[228:231], a[152:153], v[164:165], v[228:231]// 0000000067FC: D3F300E4 0F934998
	v_mfma_f32_16x16x32_fp8_fp8 v[228:231], a[154:155], v[166:167], v[228:231]// 000000006804: D3F300E4 0F934D9A
	v_mfma_f32_16x16x32_fp8_fp8 v[232:235], a[156:157], v[140:141], v[232:235]// 00000000680C: D3F300E8 0FA3199C
	v_mfma_f32_16x16x32_fp8_fp8 v[232:235], a[158:159], v[142:143], v[232:235]// 000000006814: D3F300E8 0FA31D9E
	buffer_load_dwordx4 a[60:63], v43, s[12:15], 0 offen       // 00000000681C: E05C1000 80833C2B
	s_add_u32 s12, s78, s12                                    // 000000006824: 800C0C4E
	s_addc_u32 s13, 0, s13                                     // 000000006828: 820D0D80
	v_mfma_f32_16x16x32_fp8_fp8 v[236:239], a[156:157], v[164:165], v[236:239]// 00000000682C: D3F300EC 0FB3499C
	v_mfma_f32_16x16x32_fp8_fp8 v[236:239], a[158:159], v[166:167], v[236:239]// 000000006834: D3F300EC 0FB34D9E
	s_waitcnt vmcnt(37)                                        // 00000000683C: BF8C8F75
	v_mfma_f32_16x16x32_fp8_fp8 v[208:211], a[160:161], v[144:145], v[208:211]// 000000006840: D3F300D0 0F4321A0
	v_mfma_f32_16x16x32_fp8_fp8 v[208:211], a[162:163], v[146:147], v[208:211]// 000000006848: D3F300D0 0F4325A2
	buffer_load_dwordx4 a[64:67], v40, s[12:15], 0 offen       // 000000006850: E05C1000 80834028
	v_mfma_f32_16x16x32_fp8_fp8 v[212:215], a[160:161], v[168:169], v[212:215]// 000000006858: D3F300D4 0F5351A0
	v_mfma_f32_16x16x32_fp8_fp8 v[212:215], a[162:163], v[170:171], v[212:215]// 000000006860: D3F300D4 0F5355A2
	v_mfma_f32_16x16x32_fp8_fp8 v[216:219], a[164:165], v[144:145], v[216:219]// 000000006868: D3F300D8 0F6321A4
	v_mfma_f32_16x16x32_fp8_fp8 v[216:219], a[166:167], v[146:147], v[216:219]// 000000006870: D3F300D8 0F6325A6
	buffer_load_dwordx4 a[68:71], v41, s[12:15], 0 offen       // 000000006878: E05C1000 80834429
	v_mfma_f32_16x16x32_fp8_fp8 v[220:223], a[164:165], v[168:169], v[220:223]// 000000006880: D3F300DC 0F7351A4
	v_mfma_f32_16x16x32_fp8_fp8 v[220:223], a[166:167], v[170:171], v[220:223]// 000000006888: D3F300DC 0F7355A6
	v_mfma_f32_16x16x32_fp8_fp8 v[224:227], a[168:169], v[144:145], v[224:227]// 000000006890: D3F300E0 0F8321A8
	v_mfma_f32_16x16x32_fp8_fp8 v[224:227], a[170:171], v[146:147], v[224:227]// 000000006898: D3F300E0 0F8325AA
	buffer_load_dwordx4 a[72:75], v42, s[12:15], 0 offen       // 0000000068A0: E05C1000 8083482A
	v_mfma_f32_16x16x32_fp8_fp8 v[228:231], a[168:169], v[168:169], v[228:231]// 0000000068A8: D3F300E4 0F9351A8
	v_mfma_f32_16x16x32_fp8_fp8 v[228:231], a[170:171], v[170:171], v[228:231]// 0000000068B0: D3F300E4 0F9355AA
	v_mfma_f32_16x16x32_fp8_fp8 v[232:235], a[172:173], v[144:145], v[232:235]// 0000000068B8: D3F300E8 0FA321AC
	v_mfma_f32_16x16x32_fp8_fp8 v[232:235], a[174:175], v[146:147], v[232:235]// 0000000068C0: D3F300E8 0FA325AE
	buffer_load_dwordx4 a[76:79], v43, s[12:15], 0 offen       // 0000000068C8: E05C1000 80834C2B
	s_add_u32 s12, s78, s12                                    // 0000000068D0: 800C0C4E
	s_addc_u32 s13, 0, s13                                     // 0000000068D4: 820D0D80
	v_mfma_f32_16x16x32_fp8_fp8 v[236:239], a[172:173], v[168:169], v[236:239]// 0000000068D8: D3F300EC 0FB351AC
	v_mfma_f32_16x16x32_fp8_fp8 v[236:239], a[174:175], v[170:171], v[236:239]// 0000000068E0: D3F300EC 0FB355AE
	s_waitcnt vmcnt(36)                                        // 0000000068E8: BF8C8F74
	v_mfma_f32_16x16x32_fp8_fp8 v[208:211], a[176:177], v[148:149], v[208:211]// 0000000068EC: D3F300D0 0F4329B0
	v_mfma_f32_16x16x32_fp8_fp8 v[208:211], a[178:179], v[150:151], v[208:211]// 0000000068F4: D3F300D0 0F432DB2
	buffer_load_dwordx4 a[80:83], v40, s[12:15], 0 offen       // 0000000068FC: E05C1000 80835028
	v_mfma_f32_16x16x32_fp8_fp8 v[212:215], a[176:177], v[172:173], v[212:215]// 000000006904: D3F300D4 0F5359B0
	v_mfma_f32_16x16x32_fp8_fp8 v[212:215], a[178:179], v[174:175], v[212:215]// 00000000690C: D3F300D4 0F535DB2
	buffer_load_dword v12, v5, s[16:19], 0 offen               // 000000006914: E0501000 80040C05
	v_mfma_f32_16x16x32_fp8_fp8 v[216:219], a[180:181], v[148:149], v[216:219]// 00000000691C: D3F300D8 0F6329B4
	v_mfma_f32_16x16x32_fp8_fp8 v[216:219], a[182:183], v[150:151], v[216:219]// 000000006924: D3F300D8 0F632DB6
	buffer_load_dwordx4 a[84:87], v41, s[12:15], 0 offen       // 00000000692C: E05C1000 80835429
	v_mfma_f32_16x16x32_fp8_fp8 v[220:223], a[180:181], v[172:173], v[220:223]// 000000006934: D3F300DC 0F7359B4
	v_mfma_f32_16x16x32_fp8_fp8 v[220:223], a[182:183], v[174:175], v[220:223]// 00000000693C: D3F300DC 0F735DB6
	v_mfma_f32_16x16x32_fp8_fp8 v[224:227], a[184:185], v[148:149], v[224:227]// 000000006944: D3F300E0 0F8329B8
	v_mfma_f32_16x16x32_fp8_fp8 v[224:227], a[186:187], v[150:151], v[224:227]// 00000000694C: D3F300E0 0F832DBA
	buffer_load_dwordx4 a[88:91], v42, s[12:15], 0 offen       // 000000006954: E05C1000 8083582A
	v_mfma_f32_16x16x32_fp8_fp8 v[228:231], a[184:185], v[172:173], v[228:231]// 00000000695C: D3F300E4 0F9359B8
	v_mfma_f32_16x16x32_fp8_fp8 v[228:231], a[186:187], v[174:175], v[228:231]// 000000006964: D3F300E4 0F935DBA
	v_mfma_f32_16x16x32_fp8_fp8 v[232:235], a[188:189], v[148:149], v[232:235]// 00000000696C: D3F300E8 0FA329BC
	v_mfma_f32_16x16x32_fp8_fp8 v[232:235], a[190:191], v[150:151], v[232:235]// 000000006974: D3F300E8 0FA32DBE
	buffer_load_dwordx4 a[92:95], v43, s[12:15], 0 offen       // 00000000697C: E05C1000 80835C2B
	v_mfma_f32_16x16x32_fp8_fp8 v[236:239], a[188:189], v[172:173], v[236:239]// 000000006984: D3F300EC 0FB359BC
	v_mfma_f32_16x16x32_fp8_fp8 v[236:239], a[190:191], v[174:175], v[236:239]// 00000000698C: D3F300EC 0FB35DBE
	s_add_u32 s60, 0x200, s80                                  // 000000006994: 803C50FF 00000200
	s_cmp_lt_u32 s60, s81                                      // 00000000699C: BF0A513C
	s_cselect_b32 s56, s56, 0                                  // 0000000069A0: 85388038
	s_cselect_b32 s78, s78, 0                                  // 0000000069A4: 854E804E
	s_cselect_b32 s79, s79, 0                                  // 0000000069A8: 854F804F
	s_add_u32 s12, s56, s12                                    // 0000000069AC: 800C0C38
	s_addc_u32 s13, 0, s13                                     // 0000000069B0: 820D0D80
	s_add_u32 s16, s79, s16                                    // 0000000069B4: 8010104F
	s_addc_u32 s17, 0, s17                                     // 0000000069B8: 82111180
	v_mul_f32_e32 v208, v24, v208                              // 0000000069BC: 0BA1A118
	v_mul_f32_e32 v209, v24, v209                              // 0000000069C0: 0BA3A318
	v_mul_f32_e32 v210, v24, v210                              // 0000000069C4: 0BA5A518
	v_mul_f32_e32 v211, v24, v211                              // 0000000069C8: 0BA7A718
	v_mul_f32_dpp v208, v13, v208 row_newbcast:0 row_mask:0xf bank_mask:0xf// 0000000069CC: 0BA1A0FA FF01500D
	v_mul_f32_dpp v209, v13, v209 row_newbcast:1 row_mask:0xf bank_mask:0xf// 0000000069D4: 0BA3A2FA FF01510D
	v_mul_f32_dpp v210, v13, v210 row_newbcast:2 row_mask:0xf bank_mask:0xf// 0000000069DC: 0BA5A4FA FF01520D
	v_mul_f32_dpp v211, v13, v211 row_newbcast:3 row_mask:0xf bank_mask:0xf// 0000000069E4: 0BA7A6FA FF01530D
	v_mul_f32_e32 v208, v20, v208                              // 0000000069EC: 0BA1A114
	v_mul_f32_e32 v209, v20, v209                              // 0000000069F0: 0BA3A314
	v_mul_f32_e32 v210, v20, v210                              // 0000000069F4: 0BA5A514
	v_mul_f32_e32 v211, v20, v211                              // 0000000069F8: 0BA7A714
	v_mul_f32_e32 v212, v25, v212                              // 0000000069FC: 0BA9A919
	v_mul_f32_e32 v213, v25, v213                              // 000000006A00: 0BABAB19
	v_mul_f32_e32 v214, v25, v214                              // 000000006A04: 0BADAD19
	v_mul_f32_e32 v215, v25, v215                              // 000000006A08: 0BAFAF19
	v_mul_f32_dpp v212, v13, v212 row_newbcast:0 row_mask:0xf bank_mask:0xf// 000000006A0C: 0BA9A8FA FF01500D
	v_mul_f32_dpp v213, v13, v213 row_newbcast:1 row_mask:0xf bank_mask:0xf// 000000006A14: 0BABAAFA FF01510D
	v_mul_f32_dpp v214, v13, v214 row_newbcast:2 row_mask:0xf bank_mask:0xf// 000000006A1C: 0BADACFA FF01520D
	v_mul_f32_dpp v215, v13, v215 row_newbcast:3 row_mask:0xf bank_mask:0xf// 000000006A24: 0BAFAEFA FF01530D
	v_mul_f32_e32 v212, v21, v212                              // 000000006A2C: 0BA9A915
	v_mul_f32_e32 v213, v21, v213                              // 000000006A30: 0BABAB15
	v_mul_f32_e32 v214, v21, v214                              // 000000006A34: 0BADAD15
	v_mul_f32_e32 v215, v21, v215                              // 000000006A38: 0BAFAF15
	v_mul_f32_e32 v216, v24, v216                              // 000000006A3C: 0BB1B118
	v_mul_f32_e32 v217, v24, v217                              // 000000006A40: 0BB3B318
	v_mul_f32_e32 v218, v24, v218                              // 000000006A44: 0BB5B518
	v_mul_f32_e32 v219, v24, v219                              // 000000006A48: 0BB7B718
	v_mul_f32_dpp v216, v13, v216 row_newbcast:4 row_mask:0xf bank_mask:0xf// 000000006A4C: 0BB1B0FA FF01540D
	v_mul_f32_dpp v217, v13, v217 row_newbcast:5 row_mask:0xf bank_mask:0xf// 000000006A54: 0BB3B2FA FF01550D
	v_mul_f32_dpp v218, v13, v218 row_newbcast:6 row_mask:0xf bank_mask:0xf// 000000006A5C: 0BB5B4FA FF01560D
	v_mul_f32_dpp v219, v13, v219 row_newbcast:7 row_mask:0xf bank_mask:0xf// 000000006A64: 0BB7B6FA FF01570D
	v_mul_f32_e32 v216, v20, v216                              // 000000006A6C: 0BB1B114
	v_mul_f32_e32 v217, v20, v217                              // 000000006A70: 0BB3B314
	v_mul_f32_e32 v218, v20, v218                              // 000000006A74: 0BB5B514
	v_mul_f32_e32 v219, v20, v219                              // 000000006A78: 0BB7B714
	v_mul_f32_e32 v220, v25, v220                              // 000000006A7C: 0BB9B919
	v_mul_f32_e32 v221, v25, v221                              // 000000006A80: 0BBBBB19
	v_mul_f32_e32 v222, v25, v222                              // 000000006A84: 0BBDBD19
	v_mul_f32_e32 v223, v25, v223                              // 000000006A88: 0BBFBF19
	v_mul_f32_dpp v220, v13, v220 row_newbcast:4 row_mask:0xf bank_mask:0xf// 000000006A8C: 0BB9B8FA FF01540D
	v_mul_f32_dpp v221, v13, v221 row_newbcast:5 row_mask:0xf bank_mask:0xf// 000000006A94: 0BBBBAFA FF01550D
	v_mul_f32_dpp v222, v13, v222 row_newbcast:6 row_mask:0xf bank_mask:0xf// 000000006A9C: 0BBDBCFA FF01560D
	v_mul_f32_dpp v223, v13, v223 row_newbcast:7 row_mask:0xf bank_mask:0xf// 000000006AA4: 0BBFBEFA FF01570D
	v_mul_f32_e32 v220, v21, v220                              // 000000006AAC: 0BB9B915
	v_mul_f32_e32 v221, v21, v221                              // 000000006AB0: 0BBBBB15
	v_mul_f32_e32 v222, v21, v222                              // 000000006AB4: 0BBDBD15
	v_mul_f32_e32 v223, v21, v223                              // 000000006AB8: 0BBFBF15
	v_mul_f32_e32 v224, v24, v224                              // 000000006ABC: 0BC1C118
	v_mul_f32_e32 v225, v24, v225                              // 000000006AC0: 0BC3C318
	v_mul_f32_e32 v226, v24, v226                              // 000000006AC4: 0BC5C518
	v_mul_f32_e32 v227, v24, v227                              // 000000006AC8: 0BC7C718
	v_mul_f32_dpp v224, v13, v224 row_newbcast:8 row_mask:0xf bank_mask:0xf// 000000006ACC: 0BC1C0FA FF01580D
	v_mul_f32_dpp v225, v13, v225 row_newbcast:9 row_mask:0xf bank_mask:0xf// 000000006AD4: 0BC3C2FA FF01590D
	v_mul_f32_dpp v226, v13, v226 row_newbcast:10 row_mask:0xf bank_mask:0xf// 000000006ADC: 0BC5C4FA FF015A0D
	v_mul_f32_dpp v227, v13, v227 row_newbcast:11 row_mask:0xf bank_mask:0xf// 000000006AE4: 0BC7C6FA FF015B0D
	v_mul_f32_e32 v224, v20, v224                              // 000000006AEC: 0BC1C114
	v_mul_f32_e32 v225, v20, v225                              // 000000006AF0: 0BC3C314
	v_mul_f32_e32 v226, v20, v226                              // 000000006AF4: 0BC5C514
	v_mul_f32_e32 v227, v20, v227                              // 000000006AF8: 0BC7C714
	v_mul_f32_e32 v228, v25, v228                              // 000000006AFC: 0BC9C919
	v_mul_f32_e32 v229, v25, v229                              // 000000006B00: 0BCBCB19
	v_mul_f32_e32 v230, v25, v230                              // 000000006B04: 0BCDCD19
	v_mul_f32_e32 v231, v25, v231                              // 000000006B08: 0BCFCF19
	v_mul_f32_dpp v228, v13, v228 row_newbcast:8 row_mask:0xf bank_mask:0xf// 000000006B0C: 0BC9C8FA FF01580D
	v_mul_f32_dpp v229, v13, v229 row_newbcast:9 row_mask:0xf bank_mask:0xf// 000000006B14: 0BCBCAFA FF01590D
	v_mul_f32_dpp v230, v13, v230 row_newbcast:10 row_mask:0xf bank_mask:0xf// 000000006B1C: 0BCDCCFA FF015A0D
	v_mul_f32_dpp v231, v13, v231 row_newbcast:11 row_mask:0xf bank_mask:0xf// 000000006B24: 0BCFCEFA FF015B0D
	v_mul_f32_e32 v228, v21, v228                              // 000000006B2C: 0BC9C915
	v_mul_f32_e32 v229, v21, v229                              // 000000006B30: 0BCBCB15
	v_mul_f32_e32 v230, v21, v230                              // 000000006B34: 0BCDCD15
	v_mul_f32_e32 v231, v21, v231                              // 000000006B38: 0BCFCF15
	v_mul_f32_e32 v232, v24, v232                              // 000000006B3C: 0BD1D118
	v_mul_f32_e32 v233, v24, v233                              // 000000006B40: 0BD3D318
	v_mul_f32_e32 v234, v24, v234                              // 000000006B44: 0BD5D518
	v_mul_f32_e32 v235, v24, v235                              // 000000006B48: 0BD7D718
	v_mul_f32_dpp v232, v13, v232 row_newbcast:12 row_mask:0xf bank_mask:0xf// 000000006B4C: 0BD1D0FA FF015C0D
	v_mul_f32_dpp v233, v13, v233 row_newbcast:13 row_mask:0xf bank_mask:0xf// 000000006B54: 0BD3D2FA FF015D0D
	v_mul_f32_dpp v234, v13, v234 row_newbcast:14 row_mask:0xf bank_mask:0xf// 000000006B5C: 0BD5D4FA FF015E0D
	v_mul_f32_dpp v235, v13, v235 row_newbcast:15 row_mask:0xf bank_mask:0xf// 000000006B64: 0BD7D6FA FF015F0D
	v_mul_f32_e32 v232, v20, v232                              // 000000006B6C: 0BD1D114
	v_mul_f32_e32 v233, v20, v233                              // 000000006B70: 0BD3D314
	v_mul_f32_e32 v234, v20, v234                              // 000000006B74: 0BD5D514
	v_mul_f32_e32 v235, v20, v235                              // 000000006B78: 0BD7D714
	v_mul_f32_e32 v236, v25, v236                              // 000000006B7C: 0BD9D919
	v_mul_f32_e32 v237, v25, v237                              // 000000006B80: 0BDBDB19
	v_mul_f32_e32 v238, v25, v238                              // 000000006B84: 0BDDDD19
	v_mul_f32_e32 v239, v25, v239                              // 000000006B88: 0BDFDF19
	v_mul_f32_dpp v236, v13, v236 row_newbcast:12 row_mask:0xf bank_mask:0xf// 000000006B8C: 0BD9D8FA FF015C0D
	v_mul_f32_dpp v237, v13, v237 row_newbcast:13 row_mask:0xf bank_mask:0xf// 000000006B94: 0BDBDAFA FF015D0D
	v_mul_f32_dpp v238, v13, v238 row_newbcast:14 row_mask:0xf bank_mask:0xf// 000000006B9C: 0BDDDCFA FF015E0D
	v_mul_f32_dpp v239, v13, v239 row_newbcast:15 row_mask:0xf bank_mask:0xf// 000000006BA4: 0BDFDEFA FF015F0D
	v_mul_f32_e32 v236, v21, v236                              // 000000006BAC: 0BD9D915
	v_mul_f32_e32 v237, v21, v237                              // 000000006BB0: 0BDBDB15
	v_mul_f32_e32 v238, v21, v238                              // 000000006BB4: 0BDDDD15
	v_mul_f32_e32 v239, v21, v239                              // 000000006BB8: 0BDFDF15
	v_cmp_u_f32_e64 s[48:49], v208, v208                       // 000000006BBC: D0480030 0003A1D0
	v_add3_u32 v44, v208, v47, 1                               // 000000006BC4: D1FF002C 02065FD0
	v_cndmask_b32_e64 v50, v44, v46, s[48:49]                  // 000000006BCC: D1000032 00C25D2C
	v_cmp_u_f32_e64 s[48:49], v209, v209                       // 000000006BD4: D0480030 0003A3D1
	v_add3_u32 v44, v209, v47, 1                               // 000000006BDC: D1FF002C 02065FD1
	v_cndmask_b32_e64 v51, v44, v46, s[48:49]                  // 000000006BE4: D1000033 00C25D2C
	v_perm_b32 v208, v51, v50, s52                             // 000000006BEC: D1ED00D0 00D26533
	v_cmp_u_f32_e64 s[48:49], v210, v210                       // 000000006BF4: D0480030 0003A5D2
	v_add3_u32 v44, v210, v47, 1                               // 000000006BFC: D1FF002C 02065FD2
	v_cndmask_b32_e64 v50, v44, v46, s[48:49]                  // 000000006C04: D1000032 00C25D2C
	v_cmp_u_f32_e64 s[48:49], v211, v211                       // 000000006C0C: D0480030 0003A7D3
	v_add3_u32 v44, v211, v47, 1                               // 000000006C14: D1FF002C 02065FD3
	v_cndmask_b32_e64 v51, v44, v46, s[48:49]                  // 000000006C1C: D1000033 00C25D2C
	v_perm_b32 v209, v51, v50, s52                             // 000000006C24: D1ED00D1 00D26533
	v_cmp_u_f32_e64 s[48:49], v212, v212                       // 000000006C2C: D0480030 0003A9D4
	v_add3_u32 v44, v212, v47, 1                               // 000000006C34: D1FF002C 02065FD4
	v_cndmask_b32_e64 v50, v44, v46, s[48:49]                  // 000000006C3C: D1000032 00C25D2C
	v_cmp_u_f32_e64 s[48:49], v213, v213                       // 000000006C44: D0480030 0003ABD5
	v_add3_u32 v44, v213, v47, 1                               // 000000006C4C: D1FF002C 02065FD5
	v_cndmask_b32_e64 v51, v44, v46, s[48:49]                  // 000000006C54: D1000033 00C25D2C
	v_perm_b32 v210, v51, v50, s52                             // 000000006C5C: D1ED00D2 00D26533
	v_cmp_u_f32_e64 s[48:49], v214, v214                       // 000000006C64: D0480030 0003ADD6
	v_add3_u32 v44, v214, v47, 1                               // 000000006C6C: D1FF002C 02065FD6
	v_cndmask_b32_e64 v50, v44, v46, s[48:49]                  // 000000006C74: D1000032 00C25D2C
	v_cmp_u_f32_e64 s[48:49], v215, v215                       // 000000006C7C: D0480030 0003AFD7
	v_add3_u32 v44, v215, v47, 1                               // 000000006C84: D1FF002C 02065FD7
	v_cndmask_b32_e64 v51, v44, v46, s[48:49]                  // 000000006C8C: D1000033 00C25D2C
	v_perm_b32 v211, v51, v50, s52                             // 000000006C94: D1ED00D3 00D26533
	v_cmp_u_f32_e64 s[48:49], v216, v216                       // 000000006C9C: D0480030 0003B1D8
	v_add3_u32 v44, v216, v47, 1                               // 000000006CA4: D1FF002C 02065FD8
	v_cndmask_b32_e64 v50, v44, v46, s[48:49]                  // 000000006CAC: D1000032 00C25D2C
	v_cmp_u_f32_e64 s[48:49], v217, v217                       // 000000006CB4: D0480030 0003B3D9
	v_add3_u32 v44, v217, v47, 1                               // 000000006CBC: D1FF002C 02065FD9
	v_cndmask_b32_e64 v51, v44, v46, s[48:49]                  // 000000006CC4: D1000033 00C25D2C
	v_perm_b32 v212, v51, v50, s52                             // 000000006CCC: D1ED00D4 00D26533
	v_cmp_u_f32_e64 s[48:49], v218, v218                       // 000000006CD4: D0480030 0003B5DA
	v_add3_u32 v44, v218, v47, 1                               // 000000006CDC: D1FF002C 02065FDA
	v_cndmask_b32_e64 v50, v44, v46, s[48:49]                  // 000000006CE4: D1000032 00C25D2C
	v_cmp_u_f32_e64 s[48:49], v219, v219                       // 000000006CEC: D0480030 0003B7DB
	v_add3_u32 v44, v219, v47, 1                               // 000000006CF4: D1FF002C 02065FDB
	v_cndmask_b32_e64 v51, v44, v46, s[48:49]                  // 000000006CFC: D1000033 00C25D2C
	v_perm_b32 v213, v51, v50, s52                             // 000000006D04: D1ED00D5 00D26533
	v_cmp_u_f32_e64 s[48:49], v220, v220                       // 000000006D0C: D0480030 0003B9DC
	v_add3_u32 v44, v220, v47, 1                               // 000000006D14: D1FF002C 02065FDC
	v_cndmask_b32_e64 v50, v44, v46, s[48:49]                  // 000000006D1C: D1000032 00C25D2C
	v_cmp_u_f32_e64 s[48:49], v221, v221                       // 000000006D24: D0480030 0003BBDD
	v_add3_u32 v44, v221, v47, 1                               // 000000006D2C: D1FF002C 02065FDD
	v_cndmask_b32_e64 v51, v44, v46, s[48:49]                  // 000000006D34: D1000033 00C25D2C
	v_perm_b32 v214, v51, v50, s52                             // 000000006D3C: D1ED00D6 00D26533
	v_cmp_u_f32_e64 s[48:49], v222, v222                       // 000000006D44: D0480030 0003BDDE
	v_add3_u32 v44, v222, v47, 1                               // 000000006D4C: D1FF002C 02065FDE
	v_cndmask_b32_e64 v50, v44, v46, s[48:49]                  // 000000006D54: D1000032 00C25D2C
	v_cmp_u_f32_e64 s[48:49], v223, v223                       // 000000006D5C: D0480030 0003BFDF
	v_add3_u32 v44, v223, v47, 1                               // 000000006D64: D1FF002C 02065FDF
	v_cndmask_b32_e64 v51, v44, v46, s[48:49]                  // 000000006D6C: D1000033 00C25D2C
	v_perm_b32 v215, v51, v50, s52                             // 000000006D74: D1ED00D7 00D26533
	v_cmp_u_f32_e64 s[48:49], v224, v224                       // 000000006D7C: D0480030 0003C1E0
	v_add3_u32 v44, v224, v47, 1                               // 000000006D84: D1FF002C 02065FE0
	v_cndmask_b32_e64 v50, v44, v46, s[48:49]                  // 000000006D8C: D1000032 00C25D2C
	v_cmp_u_f32_e64 s[48:49], v225, v225                       // 000000006D94: D0480030 0003C3E1
	v_add3_u32 v44, v225, v47, 1                               // 000000006D9C: D1FF002C 02065FE1
	v_cndmask_b32_e64 v51, v44, v46, s[48:49]                  // 000000006DA4: D1000033 00C25D2C
	v_perm_b32 v216, v51, v50, s52                             // 000000006DAC: D1ED00D8 00D26533
	v_cmp_u_f32_e64 s[48:49], v226, v226                       // 000000006DB4: D0480030 0003C5E2
	v_add3_u32 v44, v226, v47, 1                               // 000000006DBC: D1FF002C 02065FE2
	v_cndmask_b32_e64 v50, v44, v46, s[48:49]                  // 000000006DC4: D1000032 00C25D2C
	v_cmp_u_f32_e64 s[48:49], v227, v227                       // 000000006DCC: D0480030 0003C7E3
	v_add3_u32 v44, v227, v47, 1                               // 000000006DD4: D1FF002C 02065FE3
	v_cndmask_b32_e64 v51, v44, v46, s[48:49]                  // 000000006DDC: D1000033 00C25D2C
	v_perm_b32 v217, v51, v50, s52                             // 000000006DE4: D1ED00D9 00D26533
	v_cmp_u_f32_e64 s[48:49], v228, v228                       // 000000006DEC: D0480030 0003C9E4
	v_add3_u32 v44, v228, v47, 1                               // 000000006DF4: D1FF002C 02065FE4
	v_cndmask_b32_e64 v50, v44, v46, s[48:49]                  // 000000006DFC: D1000032 00C25D2C
	v_cmp_u_f32_e64 s[48:49], v229, v229                       // 000000006E04: D0480030 0003CBE5
	v_add3_u32 v44, v229, v47, 1                               // 000000006E0C: D1FF002C 02065FE5
	v_cndmask_b32_e64 v51, v44, v46, s[48:49]                  // 000000006E14: D1000033 00C25D2C
	v_perm_b32 v218, v51, v50, s52                             // 000000006E1C: D1ED00DA 00D26533
	v_cmp_u_f32_e64 s[48:49], v230, v230                       // 000000006E24: D0480030 0003CDE6
	v_add3_u32 v44, v230, v47, 1                               // 000000006E2C: D1FF002C 02065FE6
	v_cndmask_b32_e64 v50, v44, v46, s[48:49]                  // 000000006E34: D1000032 00C25D2C
	v_cmp_u_f32_e64 s[48:49], v231, v231                       // 000000006E3C: D0480030 0003CFE7
	v_add3_u32 v44, v231, v47, 1                               // 000000006E44: D1FF002C 02065FE7
	v_cndmask_b32_e64 v51, v44, v46, s[48:49]                  // 000000006E4C: D1000033 00C25D2C
	v_perm_b32 v219, v51, v50, s52                             // 000000006E54: D1ED00DB 00D26533
	v_cmp_u_f32_e64 s[48:49], v232, v232                       // 000000006E5C: D0480030 0003D1E8
	v_add3_u32 v44, v232, v47, 1                               // 000000006E64: D1FF002C 02065FE8
	v_cndmask_b32_e64 v50, v44, v46, s[48:49]                  // 000000006E6C: D1000032 00C25D2C
	v_cmp_u_f32_e64 s[48:49], v233, v233                       // 000000006E74: D0480030 0003D3E9
	v_add3_u32 v44, v233, v47, 1                               // 000000006E7C: D1FF002C 02065FE9
	v_cndmask_b32_e64 v51, v44, v46, s[48:49]                  // 000000006E84: D1000033 00C25D2C
	v_perm_b32 v220, v51, v50, s52                             // 000000006E8C: D1ED00DC 00D26533
	v_cmp_u_f32_e64 s[48:49], v234, v234                       // 000000006E94: D0480030 0003D5EA
	v_add3_u32 v44, v234, v47, 1                               // 000000006E9C: D1FF002C 02065FEA
	v_cndmask_b32_e64 v50, v44, v46, s[48:49]                  // 000000006EA4: D1000032 00C25D2C
	v_cmp_u_f32_e64 s[48:49], v235, v235                       // 000000006EAC: D0480030 0003D7EB
	v_add3_u32 v44, v235, v47, 1                               // 000000006EB4: D1FF002C 02065FEB
	v_cndmask_b32_e64 v51, v44, v46, s[48:49]                  // 000000006EBC: D1000033 00C25D2C
	v_perm_b32 v221, v51, v50, s52                             // 000000006EC4: D1ED00DD 00D26533
	v_cmp_u_f32_e64 s[48:49], v236, v236                       // 000000006ECC: D0480030 0003D9EC
	v_add3_u32 v44, v236, v47, 1                               // 000000006ED4: D1FF002C 02065FEC
	v_cndmask_b32_e64 v50, v44, v46, s[48:49]                  // 000000006EDC: D1000032 00C25D2C
	v_cmp_u_f32_e64 s[48:49], v237, v237                       // 000000006EE4: D0480030 0003DBED
	v_add3_u32 v44, v237, v47, 1                               // 000000006EEC: D1FF002C 02065FED
	v_cndmask_b32_e64 v51, v44, v46, s[48:49]                  // 000000006EF4: D1000033 00C25D2C
	v_perm_b32 v222, v51, v50, s52                             // 000000006EFC: D1ED00DE 00D26533
	v_cmp_u_f32_e64 s[48:49], v238, v238                       // 000000006F04: D0480030 0003DDEE
	v_add3_u32 v44, v238, v47, 1                               // 000000006F0C: D1FF002C 02065FEE
	v_cndmask_b32_e64 v50, v44, v46, s[48:49]                  // 000000006F14: D1000032 00C25D2C
	v_cmp_u_f32_e64 s[48:49], v239, v239                       // 000000006F1C: D0480030 0003DFEF
	v_add3_u32 v44, v239, v47, 1                               // 000000006F24: D1FF002C 02065FEF
	v_cndmask_b32_e64 v51, v44, v46, s[48:49]                  // 000000006F2C: D1000033 00C25D2C
	v_perm_b32 v223, v51, v50, s52                             // 000000006F34: D1ED00DF 00D26533
	ds_write_b64 v3, v[208:209] offset:30976                   // 000000006F3C: D89A7900 0000D003
	ds_write_b64 v3, v[210:211] offset:39680                   // 000000006F44: D89A9B00 0000D203
	ds_write_b64 v3, v[212:213] offset:33152                   // 000000006F4C: D89A8180 0000D403
	ds_write_b64 v3, v[214:215] offset:41856                   // 000000006F54: D89AA380 0000D603
	ds_write_b64 v3, v[216:217] offset:35328                   // 000000006F5C: D89A8A00 0000D803
	ds_write_b64 v3, v[218:219] offset:44032                   // 000000006F64: D89AAC00 0000DA03
	ds_write_b64 v3, v[220:221] offset:37504                   // 000000006F6C: D89A9280 0000DC03
	ds_write_b64 v3, v[222:223] offset:46208                   // 000000006F74: D89AB480 0000DE03
	s_waitcnt lgkmcnt(0)                                       // 000000006F7C: BF8CC07F
	s_barrier                                                  // 000000006F80: BF8A0000
	ds_read_b32 v64, v4 offset:30976                           // 000000006F84: D86C7900 40000004
	ds_read_b32 v65, v4 offset:35328                           // 000000006F8C: D86C8A00 41000004
	ds_read_b32 v66, v4 offset:31008                           // 000000006F94: D86C7920 42000004
	ds_read_b32 v67, v4 offset:35360                           // 000000006F9C: D86C8A20 43000004
	ds_read_b32 v68, v4 offset:31040                           // 000000006FA4: D86C7940 44000004
	ds_read_b32 v69, v4 offset:35392                           // 000000006FAC: D86C8A40 45000004
	ds_read_b32 v70, v4 offset:31072                           // 000000006FB4: D86C7960 46000004
	ds_read_b32 v71, v4 offset:35424                           // 000000006FBC: D86C8A60 47000004
	ds_read_b32 v72, v4 offset:39680                           // 000000006FC4: D86C9B00 48000004
	ds_read_b32 v73, v4 offset:44032                           // 000000006FCC: D86CAC00 49000004
	ds_read_b32 v74, v4 offset:39712                           // 000000006FD4: D86C9B20 4A000004
	ds_read_b32 v75, v4 offset:44064                           // 000000006FDC: D86CAC20 4B000004
	ds_read_b32 v76, v4 offset:39744                           // 000000006FE4: D86C9B40 4C000004
	ds_read_b32 v77, v4 offset:44096                           // 000000006FEC: D86CAC40 4D000004
	ds_read_b32 v78, v4 offset:39776                           // 000000006FF4: D86C9B60 4E000004
	ds_read_b32 v79, v4 offset:44128                           // 000000006FFC: D86CAC60 4F000004
	s_waitcnt lgkmcnt(0)                                       // 000000007004: BF8CC07F
	s_mov_b64 exec, s[20:21]                                   // 000000007008: BEFE0114
	global_atomic_pk_add_bf16 v80, v64, s[8:9]                 // 00000000700C: DD488000 00084050
	s_mov_b64 exec, s[36:37]                                   // 000000007014: BEFE0124
	s_mov_b64 exec, s[20:21]                                   // 000000007018: BEFE0114
	global_atomic_pk_add_bf16 v80, v65, s[8:9] offset:256      // 00000000701C: DD488100 00084150
	s_mov_b64 exec, s[36:37]                                   // 000000007024: BEFE0124
	s_mov_b64 exec, s[22:23]                                   // 000000007028: BEFE0116
	global_atomic_pk_add_bf16 v82, v66, s[8:9]                 // 00000000702C: DD488000 00084252
	s_mov_b64 exec, s[36:37]                                   // 000000007034: BEFE0124
	s_mov_b64 exec, s[22:23]                                   // 000000007038: BEFE0116
	global_atomic_pk_add_bf16 v82, v67, s[8:9] offset:256      // 00000000703C: DD488100 00084352
	s_mov_b64 exec, s[36:37]                                   // 000000007044: BEFE0124
	s_mov_b64 exec, s[24:25]                                   // 000000007048: BEFE0118
	global_atomic_pk_add_bf16 v84, v68, s[8:9]                 // 00000000704C: DD488000 00084454
	s_mov_b64 exec, s[36:37]                                   // 000000007054: BEFE0124
	s_mov_b64 exec, s[24:25]                                   // 000000007058: BEFE0118
	global_atomic_pk_add_bf16 v84, v69, s[8:9] offset:256      // 00000000705C: DD488100 00084554
	s_mov_b64 exec, s[36:37]                                   // 000000007064: BEFE0124
	s_mov_b64 exec, s[26:27]                                   // 000000007068: BEFE011A
	global_atomic_pk_add_bf16 v86, v70, s[8:9]                 // 00000000706C: DD488000 00084656
	s_mov_b64 exec, s[36:37]                                   // 000000007074: BEFE0124
	s_mov_b64 exec, s[26:27]                                   // 000000007078: BEFE011A
	global_atomic_pk_add_bf16 v86, v71, s[8:9] offset:256      // 00000000707C: DD488100 00084756
	s_mov_b64 exec, s[36:37]                                   // 000000007084: BEFE0124
	s_mov_b64 exec, s[28:29]                                   // 000000007088: BEFE011C
	global_atomic_pk_add_bf16 v88, v72, s[8:9]                 // 00000000708C: DD488000 00084858
	s_mov_b64 exec, s[36:37]                                   // 000000007094: BEFE0124
	s_mov_b64 exec, s[28:29]                                   // 000000007098: BEFE011C
	global_atomic_pk_add_bf16 v88, v73, s[8:9] offset:256      // 00000000709C: DD488100 00084958
	s_mov_b64 exec, s[36:37]                                   // 0000000070A4: BEFE0124
	s_mov_b64 exec, s[30:31]                                   // 0000000070A8: BEFE011E
	global_atomic_pk_add_bf16 v90, v74, s[8:9]                 // 0000000070AC: DD488000 00084A5A
	s_mov_b64 exec, s[36:37]                                   // 0000000070B4: BEFE0124
	s_mov_b64 exec, s[30:31]                                   // 0000000070B8: BEFE011E
	global_atomic_pk_add_bf16 v90, v75, s[8:9] offset:256      // 0000000070BC: DD488100 00084B5A
	s_mov_b64 exec, s[36:37]                                   // 0000000070C4: BEFE0124
	s_mov_b64 exec, s[32:33]                                   // 0000000070C8: BEFE0120
	global_atomic_pk_add_bf16 v92, v76, s[8:9]                 // 0000000070CC: DD488000 00084C5C
	s_mov_b64 exec, s[36:37]                                   // 0000000070D4: BEFE0124
	s_mov_b64 exec, s[32:33]                                   // 0000000070D8: BEFE0120
	global_atomic_pk_add_bf16 v92, v77, s[8:9] offset:256      // 0000000070DC: DD488100 00084D5C
	s_mov_b64 exec, s[36:37]                                   // 0000000070E4: BEFE0124
	s_mov_b64 exec, s[34:35]                                   // 0000000070E8: BEFE0122
	global_atomic_pk_add_bf16 v94, v78, s[8:9]                 // 0000000070EC: DD488000 00084E5E
	s_mov_b64 exec, s[36:37]                                   // 0000000070F4: BEFE0124
	s_mov_b64 exec, s[34:35]                                   // 0000000070F8: BEFE0122
	global_atomic_pk_add_bf16 v94, v79, s[8:9] offset:256      // 0000000070FC: DD488100 00084F5E
	s_mov_b64 exec, s[36:37]                                   // 000000007104: BEFE0124
	s_add_u32 s8, s59, s8                                      // 000000007108: 8008083B
	s_addc_u32 s9, 0, s9                                       // 00000000710C: 82090980
	s_addk_i32 s80, 0x100                                      // 000000007110: B7500100
	s_cmp_lt_i32 s80, s81                                      // 000000007114: BF045150
	s_cbranch_scc0 label_1188                                  // 000000007118: BF840001
	s_branch label_0BBD                                        // 00000000711C: BF82FA35

0000000000007120 <label_1188>:
	s_nop 0                                                    // 000000007120: BF800000
	s_nop 0                                                    // 000000007124: BF800000
	s_branch label_206F                                        // 000000007128: BF820EE4

000000000000712c <label_118B>:
	s_waitcnt vmcnt(16) lgkmcnt(0)                             // 00000000712C: BF8C4070
	s_barrier                                                  // 000000007130: BF8A0000
	v_mfma_f32_16x16x32_fp8_fp8 v[128:131], a[0:1], v[176:177], v[128:131]// 000000007134: D3F30080 0E036100
	buffer_load_dwordx4 a[96:99], v34, s[92:95], 0 offen       // 00000000713C: E05C1000 80976022
	v_mfma_f32_16x16x32_fp8_fp8 v[128:131], a[2:3], v[178:179], v[128:131]// 000000007144: D3F30080 0E036502
	v_mfma_f32_16x16x32_fp8_fp8 v[128:131], a[4:5], v[180:181], v[128:131]// 00000000714C: D3F30080 0E036904
	buffer_load_dword v26, s[20:23], 0 offen lds               // 000000007154: E0511000 8005001A
	s_add_u32 m0, 0x100, s51                                   // 00000000715C: 807C33FF 00000100
	v_mfma_f32_16x16x32_fp8_fp8 v[128:131], a[6:7], v[182:183], v[128:131]// 000000007164: D3F30080 0E036D06
	v_mfma_f32_16x16x32_fp8_fp8 v[128:131], a[8:9], v[184:185], v[128:131]// 00000000716C: D3F30080 0E037108
	buffer_load_dwordx4 a[100:103], v34, s[92:95], 0 offen offset:1024// 000000007174: E05C1400 80976422
	v_mfma_f32_16x16x32_fp8_fp8 v[128:131], a[10:11], v[186:187], v[128:131]// 00000000717C: D3F30080 0E03750A
	v_mfma_f32_16x16x32_fp8_fp8 v[128:131], a[12:13], v[188:189], v[128:131]// 000000007184: D3F30080 0E03790C
	buffer_load_dword v27, s[20:23], 0 offen lds               // 00000000718C: E0511000 8005001B
	s_add_u32 m0, 0x200, s51                                   // 000000007194: 807C33FF 00000200
	v_mfma_f32_16x16x32_fp8_fp8 v[128:131], a[14:15], v[190:191], v[128:131]// 00000000719C: D3F30080 0E037D0E
	v_mfma_f32_16x16x32_fp8_fp8 v[132:135], a[0:1], v[192:193], v[132:135]// 0000000071A4: D3F30084 0E138100
	buffer_load_dwordx4 a[104:107], v34, s[92:95], 0 offen offset:2048// 0000000071AC: E05C1800 80976822
	v_mfma_f32_16x16x32_fp8_fp8 v[132:135], a[2:3], v[194:195], v[132:135]// 0000000071B4: D3F30084 0E138502
	v_mfma_f32_16x16x32_fp8_fp8 v[132:135], a[4:5], v[196:197], v[132:135]// 0000000071BC: D3F30084 0E138904
	buffer_load_dword v28, s[20:23], 0 offen lds               // 0000000071C4: E0511000 8005001C
	s_add_u32 m0, 0x300, s51                                   // 0000000071CC: 807C33FF 00000300
	v_mfma_f32_16x16x32_fp8_fp8 v[132:135], a[6:7], v[198:199], v[132:135]// 0000000071D4: D3F30084 0E138D06
	v_mfma_f32_16x16x32_fp8_fp8 v[132:135], a[8:9], v[200:201], v[132:135]// 0000000071DC: D3F30084 0E139108
	buffer_load_dwordx4 a[108:111], v34, s[92:95], 0 offen offset:3072// 0000000071E4: E05C1C00 80976C22
	v_mfma_f32_16x16x32_fp8_fp8 v[132:135], a[10:11], v[202:203], v[132:135]// 0000000071EC: D3F30084 0E13950A
	v_mfma_f32_16x16x32_fp8_fp8 v[132:135], a[12:13], v[204:205], v[132:135]// 0000000071F4: D3F30084 0E13990C
	buffer_load_dword v29, s[20:23], 0 offen lds               // 0000000071FC: E0511000 8005001D
	s_add_u32 m0, 0x400, s51                                   // 000000007204: 807C33FF 00000400
	v_mfma_f32_16x16x32_fp8_fp8 v[132:135], a[14:15], v[206:207], v[132:135]// 00000000720C: D3F30084 0E139D0E
	v_mfma_f32_16x16x32_fp8_fp8 v[136:139], a[16:17], v[176:177], v[136:139]// 000000007214: D3F30088 0E236110
	buffer_load_dwordx4 a[112:115], v35, s[92:95], 0 offen     // 00000000721C: E05C1000 80977023
	v_mfma_f32_16x16x32_fp8_fp8 v[136:139], a[18:19], v[178:179], v[136:139]// 000000007224: D3F30088 0E236512
	v_mfma_f32_16x16x32_fp8_fp8 v[136:139], a[20:21], v[180:181], v[136:139]// 00000000722C: D3F30088 0E236914
	buffer_load_dword v30, s[20:23], 0 offen lds               // 000000007234: E0511000 8005001E
	s_add_u32 m0, 0x500, s51                                   // 00000000723C: 807C33FF 00000500
	v_mfma_f32_16x16x32_fp8_fp8 v[136:139], a[22:23], v[182:183], v[136:139]// 000000007244: D3F30088 0E236D16
	v_mfma_f32_16x16x32_fp8_fp8 v[136:139], a[24:25], v[184:185], v[136:139]// 00000000724C: D3F30088 0E237118
	buffer_load_dwordx4 a[116:119], v35, s[92:95], 0 offen offset:1024// 000000007254: E05C1400 80977423
	v_mfma_f32_16x16x32_fp8_fp8 v[136:139], a[26:27], v[186:187], v[136:139]// 00000000725C: D3F30088 0E23751A
	v_mfma_f32_16x16x32_fp8_fp8 v[136:139], a[28:29], v[188:189], v[136:139]// 000000007264: D3F30088 0E23791C
	buffer_load_dword v31, s[20:23], 0 offen lds               // 00000000726C: E0511000 8005001F
	s_add_u32 m0, 0x600, s51                                   // 000000007274: 807C33FF 00000600
	v_mfma_f32_16x16x32_fp8_fp8 v[136:139], a[30:31], v[190:191], v[136:139]// 00000000727C: D3F30088 0E237D1E
	v_mfma_f32_16x16x32_fp8_fp8 v[140:143], a[16:17], v[192:193], v[140:143]// 000000007284: D3F3008C 0E338110
	buffer_load_dwordx4 a[120:123], v35, s[92:95], 0 offen offset:2048// 00000000728C: E05C1800 80977823
	v_mfma_f32_16x16x32_fp8_fp8 v[140:143], a[18:19], v[194:195], v[140:143]// 000000007294: D3F3008C 0E338512
	v_mfma_f32_16x16x32_fp8_fp8 v[140:143], a[20:21], v[196:197], v[140:143]// 00000000729C: D3F3008C 0E338914
	buffer_load_dword v32, s[20:23], 0 offen lds               // 0000000072A4: E0511000 80050020
	s_add_u32 m0, 0x700, s51                                   // 0000000072AC: 807C33FF 00000700
	v_mfma_f32_16x16x32_fp8_fp8 v[140:143], a[22:23], v[198:199], v[140:143]// 0000000072B4: D3F3008C 0E338D16
	v_mfma_f32_16x16x32_fp8_fp8 v[140:143], a[24:25], v[200:201], v[140:143]// 0000000072BC: D3F3008C 0E339118
	buffer_load_dwordx4 a[124:127], v35, s[92:95], 0 offen offset:3072// 0000000072C4: E05C1C00 80977C23
	v_mfma_f32_16x16x32_fp8_fp8 v[140:143], a[26:27], v[202:203], v[140:143]// 0000000072CC: D3F3008C 0E33951A
	v_mfma_f32_16x16x32_fp8_fp8 v[140:143], a[28:29], v[204:205], v[140:143]// 0000000072D4: D3F3008C 0E33991C
	buffer_load_dword v33, s[20:23], 0 offen lds               // 0000000072DC: E0511000 80050021
	s_add_u32 m0, 0, s50                                       // 0000000072E4: 807C3280
	v_mfma_f32_16x16x32_fp8_fp8 v[140:143], a[30:31], v[206:207], v[140:143]// 0000000072E8: D3F3008C 0E339D1E
	s_waitcnt vmcnt(28)                                        // 0000000072F0: BF8C4F7C
	v_mfma_f32_16x16x32_fp8_fp8 v[144:147], a[32:33], v[176:177], v[144:147]// 0000000072F4: D3F30090 0E436120
	buffer_load_dwordx4 a[128:131], v36, s[92:95], 0 offen     // 0000000072FC: E05C1000 80978024
	v_mfma_f32_16x16x32_fp8_fp8 v[144:147], a[34:35], v[178:179], v[144:147]// 000000007304: D3F30090 0E436522
	v_mfma_f32_16x16x32_fp8_fp8 v[144:147], a[36:37], v[180:181], v[144:147]// 00000000730C: D3F30090 0E436924
	v_mfma_f32_16x16x32_fp8_fp8 v[144:147], a[38:39], v[182:183], v[144:147]// 000000007314: D3F30090 0E436D26
	v_mfma_f32_16x16x32_fp8_fp8 v[144:147], a[40:41], v[184:185], v[144:147]// 00000000731C: D3F30090 0E437128
	buffer_load_dwordx4 a[132:135], v36, s[92:95], 0 offen offset:1024// 000000007324: E05C1400 80978424
	v_mfma_f32_16x16x32_fp8_fp8 v[144:147], a[42:43], v[186:187], v[144:147]// 00000000732C: D3F30090 0E43752A
	v_mfma_f32_16x16x32_fp8_fp8 v[144:147], a[44:45], v[188:189], v[144:147]// 000000007334: D3F30090 0E43792C
	v_mfma_f32_16x16x32_fp8_fp8 v[144:147], a[46:47], v[190:191], v[144:147]// 00000000733C: D3F30090 0E437D2E
	v_mfma_f32_16x16x32_fp8_fp8 v[148:151], a[32:33], v[192:193], v[148:151]// 000000007344: D3F30094 0E538120
	buffer_load_dwordx4 a[136:139], v36, s[92:95], 0 offen offset:2048// 00000000734C: E05C1800 80978824
	v_mfma_f32_16x16x32_fp8_fp8 v[148:151], a[34:35], v[194:195], v[148:151]// 000000007354: D3F30094 0E538522
	v_mfma_f32_16x16x32_fp8_fp8 v[148:151], a[36:37], v[196:197], v[148:151]// 00000000735C: D3F30094 0E538924
	v_mfma_f32_16x16x32_fp8_fp8 v[148:151], a[38:39], v[198:199], v[148:151]// 000000007364: D3F30094 0E538D26
	v_mfma_f32_16x16x32_fp8_fp8 v[148:151], a[40:41], v[200:201], v[148:151]// 00000000736C: D3F30094 0E539128
	buffer_load_dwordx4 a[140:143], v36, s[92:95], 0 offen offset:3072// 000000007374: E05C1C00 80978C24
	v_mfma_f32_16x16x32_fp8_fp8 v[148:151], a[42:43], v[202:203], v[148:151]// 00000000737C: D3F30094 0E53952A
	v_mfma_f32_16x16x32_fp8_fp8 v[148:151], a[44:45], v[204:205], v[148:151]// 000000007384: D3F30094 0E53992C
	v_mfma_f32_16x16x32_fp8_fp8 v[148:151], a[46:47], v[206:207], v[148:151]// 00000000738C: D3F30094 0E539D2E
	s_waitcnt vmcnt(28)                                        // 000000007394: BF8C4F7C
	v_mfma_f32_16x16x32_fp8_fp8 v[152:155], a[48:49], v[176:177], v[152:155]// 000000007398: D3F30098 0E636130
	buffer_load_dwordx4 a[144:147], v37, s[92:95], 0 offen     // 0000000073A0: E05C1000 80979025
	v_mfma_f32_16x16x32_fp8_fp8 v[152:155], a[50:51], v[178:179], v[152:155]// 0000000073A8: D3F30098 0E636532
	v_mfma_f32_16x16x32_fp8_fp8 v[152:155], a[52:53], v[180:181], v[152:155]// 0000000073B0: D3F30098 0E636934
	v_mfma_f32_16x16x32_fp8_fp8 v[152:155], a[54:55], v[182:183], v[152:155]// 0000000073B8: D3F30098 0E636D36
	v_mfma_f32_16x16x32_fp8_fp8 v[152:155], a[56:57], v[184:185], v[152:155]// 0000000073C0: D3F30098 0E637138
	buffer_load_dwordx4 a[148:151], v37, s[92:95], 0 offen offset:1024// 0000000073C8: E05C1400 80979425
	v_mfma_f32_16x16x32_fp8_fp8 v[152:155], a[58:59], v[186:187], v[152:155]// 0000000073D0: D3F30098 0E63753A
	v_mfma_f32_16x16x32_fp8_fp8 v[152:155], a[60:61], v[188:189], v[152:155]// 0000000073D8: D3F30098 0E63793C
	v_mfma_f32_16x16x32_fp8_fp8 v[152:155], a[62:63], v[190:191], v[152:155]// 0000000073E0: D3F30098 0E637D3E
	v_mfma_f32_16x16x32_fp8_fp8 v[156:159], a[48:49], v[192:193], v[156:159]// 0000000073E8: D3F3009C 0E738130
	buffer_load_dwordx4 a[152:155], v37, s[92:95], 0 offen offset:2048// 0000000073F0: E05C1800 80979825
	v_mfma_f32_16x16x32_fp8_fp8 v[156:159], a[50:51], v[194:195], v[156:159]// 0000000073F8: D3F3009C 0E738532
	v_mfma_f32_16x16x32_fp8_fp8 v[156:159], a[52:53], v[196:197], v[156:159]// 000000007400: D3F3009C 0E738934
	v_mfma_f32_16x16x32_fp8_fp8 v[156:159], a[54:55], v[198:199], v[156:159]// 000000007408: D3F3009C 0E738D36
	v_mfma_f32_16x16x32_fp8_fp8 v[156:159], a[56:57], v[200:201], v[156:159]// 000000007410: D3F3009C 0E739138
	buffer_load_dwordx4 a[156:159], v37, s[92:95], 0 offen offset:3072// 000000007418: E05C1C00 80979C25
	v_mfma_f32_16x16x32_fp8_fp8 v[156:159], a[58:59], v[202:203], v[156:159]// 000000007420: D3F3009C 0E73953A
	v_mfma_f32_16x16x32_fp8_fp8 v[156:159], a[60:61], v[204:205], v[156:159]// 000000007428: D3F3009C 0E73993C
	v_mfma_f32_16x16x32_fp8_fp8 v[156:159], a[62:63], v[206:207], v[156:159]// 000000007430: D3F3009C 0E739D3E
	s_waitcnt vmcnt(28)                                        // 000000007438: BF8C4F7C
	v_mfma_f32_16x16x32_fp8_fp8 v[160:163], a[64:65], v[176:177], v[160:163]// 00000000743C: D3F300A0 0E836140
	buffer_load_dwordx4 a[160:163], v38, s[92:95], 0 offen     // 000000007444: E05C1000 8097A026
	v_mfma_f32_16x16x32_fp8_fp8 v[160:163], a[66:67], v[178:179], v[160:163]// 00000000744C: D3F300A0 0E836542
	v_mfma_f32_16x16x32_fp8_fp8 v[160:163], a[68:69], v[180:181], v[160:163]// 000000007454: D3F300A0 0E836944
	v_mfma_f32_16x16x32_fp8_fp8 v[160:163], a[70:71], v[182:183], v[160:163]// 00000000745C: D3F300A0 0E836D46
	v_mfma_f32_16x16x32_fp8_fp8 v[160:163], a[72:73], v[184:185], v[160:163]// 000000007464: D3F300A0 0E837148
	buffer_load_dwordx4 a[164:167], v38, s[92:95], 0 offen offset:1024// 00000000746C: E05C1400 8097A426
	v_mfma_f32_16x16x32_fp8_fp8 v[160:163], a[74:75], v[186:187], v[160:163]// 000000007474: D3F300A0 0E83754A
	v_mfma_f32_16x16x32_fp8_fp8 v[160:163], a[76:77], v[188:189], v[160:163]// 00000000747C: D3F300A0 0E83794C
	v_mfma_f32_16x16x32_fp8_fp8 v[160:163], a[78:79], v[190:191], v[160:163]// 000000007484: D3F300A0 0E837D4E
	v_mfma_f32_16x16x32_fp8_fp8 v[164:167], a[64:65], v[192:193], v[164:167]// 00000000748C: D3F300A4 0E938140
	buffer_load_dwordx4 a[168:171], v38, s[92:95], 0 offen offset:2048// 000000007494: E05C1800 8097A826
	v_mfma_f32_16x16x32_fp8_fp8 v[164:167], a[66:67], v[194:195], v[164:167]// 00000000749C: D3F300A4 0E938542
	v_mfma_f32_16x16x32_fp8_fp8 v[164:167], a[68:69], v[196:197], v[164:167]// 0000000074A4: D3F300A4 0E938944
	v_mfma_f32_16x16x32_fp8_fp8 v[164:167], a[70:71], v[198:199], v[164:167]// 0000000074AC: D3F300A4 0E938D46
	v_mfma_f32_16x16x32_fp8_fp8 v[164:167], a[72:73], v[200:201], v[164:167]// 0000000074B4: D3F300A4 0E939148
	buffer_load_dwordx4 a[172:175], v38, s[92:95], 0 offen offset:3072// 0000000074BC: E05C1C00 8097AC26
	v_mfma_f32_16x16x32_fp8_fp8 v[164:167], a[74:75], v[202:203], v[164:167]// 0000000074C4: D3F300A4 0E93954A
	v_mfma_f32_16x16x32_fp8_fp8 v[164:167], a[76:77], v[204:205], v[164:167]// 0000000074CC: D3F300A4 0E93994C
	v_mfma_f32_16x16x32_fp8_fp8 v[164:167], a[78:79], v[206:207], v[164:167]// 0000000074D4: D3F300A4 0E939D4E
	s_waitcnt vmcnt(28)                                        // 0000000074DC: BF8C4F7C
	v_mfma_f32_16x16x32_fp8_fp8 v[168:171], a[80:81], v[176:177], v[168:171]// 0000000074E0: D3F300A8 0EA36150
	buffer_load_dwordx4 a[176:179], v39, s[92:95], 0 offen     // 0000000074E8: E05C1000 8097B027
	v_mfma_f32_16x16x32_fp8_fp8 v[168:171], a[82:83], v[178:179], v[168:171]// 0000000074F0: D3F300A8 0EA36552
	v_mfma_f32_16x16x32_fp8_fp8 v[168:171], a[84:85], v[180:181], v[168:171]// 0000000074F8: D3F300A8 0EA36954
	v_mfma_f32_16x16x32_fp8_fp8 v[168:171], a[86:87], v[182:183], v[168:171]// 000000007500: D3F300A8 0EA36D56
	v_mfma_f32_16x16x32_fp8_fp8 v[168:171], a[88:89], v[184:185], v[168:171]// 000000007508: D3F300A8 0EA37158
	buffer_load_dwordx4 a[180:183], v39, s[92:95], 0 offen offset:1024// 000000007510: E05C1400 8097B427
	v_mfma_f32_16x16x32_fp8_fp8 v[168:171], a[90:91], v[186:187], v[168:171]// 000000007518: D3F300A8 0EA3755A
	v_mfma_f32_16x16x32_fp8_fp8 v[168:171], a[92:93], v[188:189], v[168:171]// 000000007520: D3F300A8 0EA3795C
	v_mfma_f32_16x16x32_fp8_fp8 v[168:171], a[94:95], v[190:191], v[168:171]// 000000007528: D3F300A8 0EA37D5E
	v_mfma_f32_16x16x32_fp8_fp8 v[172:175], a[80:81], v[192:193], v[172:175]// 000000007530: D3F300AC 0EB38150
	buffer_load_dwordx4 a[184:187], v39, s[92:95], 0 offen offset:2048// 000000007538: E05C1800 8097B827
	v_mfma_f32_16x16x32_fp8_fp8 v[172:175], a[82:83], v[194:195], v[172:175]// 000000007540: D3F300AC 0EB38552
	v_mfma_f32_16x16x32_fp8_fp8 v[172:175], a[84:85], v[196:197], v[172:175]// 000000007548: D3F300AC 0EB38954
	v_mfma_f32_16x16x32_fp8_fp8 v[172:175], a[86:87], v[198:199], v[172:175]// 000000007550: D3F300AC 0EB38D56
	v_mfma_f32_16x16x32_fp8_fp8 v[172:175], a[88:89], v[200:201], v[172:175]// 000000007558: D3F300AC 0EB39158
	buffer_load_dwordx4 a[188:191], v39, s[92:95], 0 offen offset:3072// 000000007560: E05C1C00 8097BC27
	v_mfma_f32_16x16x32_fp8_fp8 v[172:175], a[90:91], v[202:203], v[172:175]// 000000007568: D3F300AC 0EB3955A
	v_mfma_f32_16x16x32_fp8_fp8 v[172:175], a[92:93], v[204:205], v[172:175]// 000000007570: D3F300AC 0EB3995C
	v_mfma_f32_16x16x32_fp8_fp8 v[172:175], a[94:95], v[206:207], v[172:175]// 000000007578: D3F300AC 0EB39D5E
	s_waitcnt vmcnt(16)                                        // 000000007580: BF8C4F70
	s_barrier                                                  // 000000007584: BF8A0000
	v_mfma_f32_16x16x32_fp8_fp8 v[64:67], a[96:97], v[176:177], v[64:67]// 000000007588: D3F30040 0D036160
	buffer_load_dwordx4 a[0:3], v34, s[24:27], 0 offen         // 000000007590: E05C1000 80860022
	v_mfma_f32_16x16x32_fp8_fp8 v[64:67], a[98:99], v[178:179], v[64:67]// 000000007598: D3F30040 0D036562
	v_mfma_f32_16x16x32_fp8_fp8 v[64:67], a[100:101], v[180:181], v[64:67]// 0000000075A0: D3F30040 0D036964
	v_mfma_f32_16x16x32_fp8_fp8 v[64:67], a[102:103], v[182:183], v[64:67]// 0000000075A8: D3F30040 0D036D66
	v_mfma_f32_16x16x32_fp8_fp8 v[64:67], a[104:105], v[184:185], v[64:67]// 0000000075B0: D3F30040 0D037168
	buffer_load_dwordx4 a[4:7], v34, s[24:27], 0 offen offset:1024// 0000000075B8: E05C1400 80860422
	v_mfma_f32_16x16x32_fp8_fp8 v[64:67], a[106:107], v[186:187], v[64:67]// 0000000075C0: D3F30040 0D03756A
	v_mfma_f32_16x16x32_fp8_fp8 v[64:67], a[108:109], v[188:189], v[64:67]// 0000000075C8: D3F30040 0D03796C
	v_mfma_f32_16x16x32_fp8_fp8 v[64:67], a[110:111], v[190:191], v[64:67]// 0000000075D0: D3F30040 0D037D6E
	v_mfma_f32_16x16x32_fp8_fp8 v[68:71], a[96:97], v[192:193], v[68:71]// 0000000075D8: D3F30044 0D138160
	buffer_load_dwordx4 a[8:11], v34, s[24:27], 0 offen offset:2048// 0000000075E0: E05C1800 80860822
	v_mfma_f32_16x16x32_fp8_fp8 v[68:71], a[98:99], v[194:195], v[68:71]// 0000000075E8: D3F30044 0D138562
	v_mfma_f32_16x16x32_fp8_fp8 v[68:71], a[100:101], v[196:197], v[68:71]// 0000000075F0: D3F30044 0D138964
	v_mfma_f32_16x16x32_fp8_fp8 v[68:71], a[102:103], v[198:199], v[68:71]// 0000000075F8: D3F30044 0D138D66
	v_mfma_f32_16x16x32_fp8_fp8 v[68:71], a[104:105], v[200:201], v[68:71]// 000000007600: D3F30044 0D139168
	buffer_load_dwordx4 a[12:15], v34, s[24:27], 0 offen offset:3072// 000000007608: E05C1C00 80860C22
	v_mfma_f32_16x16x32_fp8_fp8 v[68:71], a[106:107], v[202:203], v[68:71]// 000000007610: D3F30044 0D13956A
	v_mfma_f32_16x16x32_fp8_fp8 v[68:71], a[108:109], v[204:205], v[68:71]// 000000007618: D3F30044 0D13996C
	v_mfma_f32_16x16x32_fp8_fp8 v[68:71], a[110:111], v[206:207], v[68:71]// 000000007620: D3F30044 0D139D6E
	v_mfma_f32_16x16x32_fp8_fp8 v[72:75], a[112:113], v[176:177], v[72:75]// 000000007628: D3F30048 0D236170
	buffer_load_dwordx4 a[16:19], v35, s[24:27], 0 offen       // 000000007630: E05C1000 80861023
	v_mfma_f32_16x16x32_fp8_fp8 v[72:75], a[114:115], v[178:179], v[72:75]// 000000007638: D3F30048 0D236572
	v_mfma_f32_16x16x32_fp8_fp8 v[72:75], a[116:117], v[180:181], v[72:75]// 000000007640: D3F30048 0D236974
	v_mfma_f32_16x16x32_fp8_fp8 v[72:75], a[118:119], v[182:183], v[72:75]// 000000007648: D3F30048 0D236D76
	v_mfma_f32_16x16x32_fp8_fp8 v[72:75], a[120:121], v[184:185], v[72:75]// 000000007650: D3F30048 0D237178
	buffer_load_dwordx4 a[20:23], v35, s[24:27], 0 offen offset:1024// 000000007658: E05C1400 80861423
	v_mfma_f32_16x16x32_fp8_fp8 v[72:75], a[122:123], v[186:187], v[72:75]// 000000007660: D3F30048 0D23757A
	v_mfma_f32_16x16x32_fp8_fp8 v[72:75], a[124:125], v[188:189], v[72:75]// 000000007668: D3F30048 0D23797C
	v_mfma_f32_16x16x32_fp8_fp8 v[72:75], a[126:127], v[190:191], v[72:75]// 000000007670: D3F30048 0D237D7E
	v_mfma_f32_16x16x32_fp8_fp8 v[76:79], a[112:113], v[192:193], v[76:79]// 000000007678: D3F3004C 0D338170
	buffer_load_dwordx4 a[24:27], v35, s[24:27], 0 offen offset:2048// 000000007680: E05C1800 80861823
	v_mfma_f32_16x16x32_fp8_fp8 v[76:79], a[114:115], v[194:195], v[76:79]// 000000007688: D3F3004C 0D338572
	v_mfma_f32_16x16x32_fp8_fp8 v[76:79], a[116:117], v[196:197], v[76:79]// 000000007690: D3F3004C 0D338974
	v_mfma_f32_16x16x32_fp8_fp8 v[76:79], a[118:119], v[198:199], v[76:79]// 000000007698: D3F3004C 0D338D76
	v_mfma_f32_16x16x32_fp8_fp8 v[76:79], a[120:121], v[200:201], v[76:79]// 0000000076A0: D3F3004C 0D339178
	buffer_load_dwordx4 a[28:31], v35, s[24:27], 0 offen offset:3072// 0000000076A8: E05C1C00 80861C23
	v_mfma_f32_16x16x32_fp8_fp8 v[76:79], a[122:123], v[202:203], v[76:79]// 0000000076B0: D3F3004C 0D33957A
	v_mfma_f32_16x16x32_fp8_fp8 v[76:79], a[124:125], v[204:205], v[76:79]// 0000000076B8: D3F3004C 0D33997C
	v_mfma_f32_16x16x32_fp8_fp8 v[76:79], a[126:127], v[206:207], v[76:79]// 0000000076C0: D3F3004C 0D339D7E
	s_waitcnt vmcnt(20)                                        // 0000000076C8: BF8C4F74
	v_mfma_f32_16x16x32_fp8_fp8 v[80:83], a[128:129], v[176:177], v[80:83]// 0000000076CC: D3F30050 0D436180
	buffer_load_dwordx4 a[32:35], v36, s[24:27], 0 offen       // 0000000076D4: E05C1000 80862024
	v_mfma_f32_16x16x32_fp8_fp8 v[80:83], a[130:131], v[178:179], v[80:83]// 0000000076DC: D3F30050 0D436582
	v_mfma_f32_16x16x32_fp8_fp8 v[80:83], a[132:133], v[180:181], v[80:83]// 0000000076E4: D3F30050 0D436984
	ds_read_b128 v[208:211], v2 offset:8320                    // 0000000076EC: D9FE2080 D0000002
	v_mfma_f32_16x16x32_fp8_fp8 v[80:83], a[134:135], v[182:183], v[80:83]// 0000000076F4: D3F30050 0D436D86
	v_mfma_f32_16x16x32_fp8_fp8 v[80:83], a[136:137], v[184:185], v[80:83]// 0000000076FC: D3F30050 0D437188
	buffer_load_dwordx4 a[36:39], v36, s[24:27], 0 offen offset:1024// 000000007704: E05C1400 80862424
	v_mfma_f32_16x16x32_fp8_fp8 v[80:83], a[138:139], v[186:187], v[80:83]// 00000000770C: D3F30050 0D43758A
	v_mfma_f32_16x16x32_fp8_fp8 v[80:83], a[140:141], v[188:189], v[80:83]// 000000007714: D3F30050 0D43798C
	ds_read_b128 v[212:215], v2 offset:8384                    // 00000000771C: D9FE20C0 D4000002
	v_mfma_f32_16x16x32_fp8_fp8 v[80:83], a[142:143], v[190:191], v[80:83]// 000000007724: D3F30050 0D437D8E
	v_mfma_f32_16x16x32_fp8_fp8 v[84:87], a[128:129], v[192:193], v[84:87]// 00000000772C: D3F30054 0D538180
	buffer_load_dwordx4 a[40:43], v36, s[24:27], 0 offen offset:2048// 000000007734: E05C1800 80862824
	v_mfma_f32_16x16x32_fp8_fp8 v[84:87], a[130:131], v[194:195], v[84:87]// 00000000773C: D3F30054 0D538582
	v_mfma_f32_16x16x32_fp8_fp8 v[84:87], a[132:133], v[196:197], v[84:87]// 000000007744: D3F30054 0D538984
	ds_read_b128 v[216:219], v2 offset:8448                    // 00000000774C: D9FE2100 D8000002
	v_mfma_f32_16x16x32_fp8_fp8 v[84:87], a[134:135], v[198:199], v[84:87]// 000000007754: D3F30054 0D538D86
	v_mfma_f32_16x16x32_fp8_fp8 v[84:87], a[136:137], v[200:201], v[84:87]// 00000000775C: D3F30054 0D539188
	buffer_load_dwordx4 a[44:47], v36, s[24:27], 0 offen offset:3072// 000000007764: E05C1C00 80862C24
	v_mfma_f32_16x16x32_fp8_fp8 v[84:87], a[138:139], v[202:203], v[84:87]// 00000000776C: D3F30054 0D53958A
	v_mfma_f32_16x16x32_fp8_fp8 v[84:87], a[140:141], v[204:205], v[84:87]// 000000007774: D3F30054 0D53998C
	ds_read_b128 v[220:223], v2 offset:8512                    // 00000000777C: D9FE2140 DC000002
	v_mfma_f32_16x16x32_fp8_fp8 v[84:87], a[142:143], v[206:207], v[84:87]// 000000007784: D3F30054 0D539D8E
	s_waitcnt vmcnt(20)                                        // 00000000778C: BF8C4F74
	v_mfma_f32_16x16x32_fp8_fp8 v[88:91], a[144:145], v[176:177], v[88:91]// 000000007790: D3F30058 0D636190
	buffer_load_dwordx4 a[48:51], v37, s[24:27], 0 offen       // 000000007798: E05C1000 80863025
	v_mfma_f32_16x16x32_fp8_fp8 v[88:91], a[146:147], v[178:179], v[88:91]// 0000000077A0: D3F30058 0D636592
	v_mfma_f32_16x16x32_fp8_fp8 v[88:91], a[148:149], v[180:181], v[88:91]// 0000000077A8: D3F30058 0D636994
	ds_read_b128 v[224:227], v2 offset:9344                    // 0000000077B0: D9FE2480 E0000002
	v_mfma_f32_16x16x32_fp8_fp8 v[88:91], a[150:151], v[182:183], v[88:91]// 0000000077B8: D3F30058 0D636D96
	v_mfma_f32_16x16x32_fp8_fp8 v[88:91], a[152:153], v[184:185], v[88:91]// 0000000077C0: D3F30058 0D637198
	buffer_load_dwordx4 a[52:55], v37, s[24:27], 0 offen offset:1024// 0000000077C8: E05C1400 80863425
	v_mfma_f32_16x16x32_fp8_fp8 v[88:91], a[154:155], v[186:187], v[88:91]// 0000000077D0: D3F30058 0D63759A
	v_mfma_f32_16x16x32_fp8_fp8 v[88:91], a[156:157], v[188:189], v[88:91]// 0000000077D8: D3F30058 0D63799C
	ds_read_b128 v[228:231], v2 offset:9408                    // 0000000077E0: D9FE24C0 E4000002
	v_mfma_f32_16x16x32_fp8_fp8 v[88:91], a[158:159], v[190:191], v[88:91]// 0000000077E8: D3F30058 0D637D9E
	v_mfma_f32_16x16x32_fp8_fp8 v[92:95], a[144:145], v[192:193], v[92:95]// 0000000077F0: D3F3005C 0D738190
	buffer_load_dwordx4 a[56:59], v37, s[24:27], 0 offen offset:2048// 0000000077F8: E05C1800 80863825
	v_mfma_f32_16x16x32_fp8_fp8 v[92:95], a[146:147], v[194:195], v[92:95]// 000000007800: D3F3005C 0D738592
	v_mfma_f32_16x16x32_fp8_fp8 v[92:95], a[148:149], v[196:197], v[92:95]// 000000007808: D3F3005C 0D738994
	ds_read_b128 v[232:235], v2 offset:9472                    // 000000007810: D9FE2500 E8000002
	v_mfma_f32_16x16x32_fp8_fp8 v[92:95], a[150:151], v[198:199], v[92:95]// 000000007818: D3F3005C 0D738D96
	v_mfma_f32_16x16x32_fp8_fp8 v[92:95], a[152:153], v[200:201], v[92:95]// 000000007820: D3F3005C 0D739198
	buffer_load_dwordx4 a[60:63], v37, s[24:27], 0 offen offset:3072// 000000007828: E05C1C00 80863C25
	v_mfma_f32_16x16x32_fp8_fp8 v[92:95], a[154:155], v[202:203], v[92:95]// 000000007830: D3F3005C 0D73959A
	v_mfma_f32_16x16x32_fp8_fp8 v[92:95], a[156:157], v[204:205], v[92:95]// 000000007838: D3F3005C 0D73999C
	ds_read_b128 v[236:239], v2 offset:9536                    // 000000007840: D9FE2540 EC000002
	v_mfma_f32_16x16x32_fp8_fp8 v[92:95], a[158:159], v[206:207], v[92:95]// 000000007848: D3F3005C 0D739D9E
	s_waitcnt vmcnt(20)                                        // 000000007850: BF8C4F74
	v_mfma_f32_16x16x32_fp8_fp8 v[96:99], a[160:161], v[176:177], v[96:99]// 000000007854: D3F30060 0D8361A0
	buffer_load_dwordx4 a[64:67], v38, s[24:27], 0 offen       // 00000000785C: E05C1000 80864026
	v_mfma_f32_16x16x32_fp8_fp8 v[96:99], a[162:163], v[178:179], v[96:99]// 000000007864: D3F30060 0D8365A2
	v_mfma_f32_16x16x32_fp8_fp8 v[96:99], a[164:165], v[180:181], v[96:99]// 00000000786C: D3F30060 0D8369A4
	v_mfma_f32_16x16x32_fp8_fp8 v[96:99], a[166:167], v[182:183], v[96:99]// 000000007874: D3F30060 0D836DA6
	v_mfma_f32_16x16x32_fp8_fp8 v[96:99], a[168:169], v[184:185], v[96:99]// 00000000787C: D3F30060 0D8371A8
	buffer_load_dwordx4 a[68:71], v38, s[24:27], 0 offen offset:1024// 000000007884: E05C1400 80864426
	v_mfma_f32_16x16x32_fp8_fp8 v[96:99], a[170:171], v[186:187], v[96:99]// 00000000788C: D3F30060 0D8375AA
	v_mfma_f32_16x16x32_fp8_fp8 v[96:99], a[172:173], v[188:189], v[96:99]// 000000007894: D3F30060 0D8379AC
	v_mfma_f32_16x16x32_fp8_fp8 v[96:99], a[174:175], v[190:191], v[96:99]// 00000000789C: D3F30060 0D837DAE
	v_mfma_f32_16x16x32_fp8_fp8 v[100:103], a[160:161], v[192:193], v[100:103]// 0000000078A4: D3F30064 0D9381A0
	buffer_load_dwordx4 a[72:75], v38, s[24:27], 0 offen offset:2048// 0000000078AC: E05C1800 80864826
	v_mfma_f32_16x16x32_fp8_fp8 v[100:103], a[162:163], v[194:195], v[100:103]// 0000000078B4: D3F30064 0D9385A2
	v_mfma_f32_16x16x32_fp8_fp8 v[100:103], a[164:165], v[196:197], v[100:103]// 0000000078BC: D3F30064 0D9389A4
	v_mfma_f32_16x16x32_fp8_fp8 v[100:103], a[166:167], v[198:199], v[100:103]// 0000000078C4: D3F30064 0D938DA6
	v_mfma_f32_16x16x32_fp8_fp8 v[100:103], a[168:169], v[200:201], v[100:103]// 0000000078CC: D3F30064 0D9391A8
	buffer_load_dwordx4 a[76:79], v38, s[24:27], 0 offen offset:3072// 0000000078D4: E05C1C00 80864C26
	v_mfma_f32_16x16x32_fp8_fp8 v[100:103], a[170:171], v[202:203], v[100:103]// 0000000078DC: D3F30064 0D9395AA
	v_mfma_f32_16x16x32_fp8_fp8 v[100:103], a[172:173], v[204:205], v[100:103]// 0000000078E4: D3F30064 0D9399AC
	v_mfma_f32_16x16x32_fp8_fp8 v[100:103], a[174:175], v[206:207], v[100:103]// 0000000078EC: D3F30064 0D939DAE
	s_waitcnt vmcnt(20)                                        // 0000000078F4: BF8C4F74
	v_mfma_f32_16x16x32_fp8_fp8 v[104:107], a[176:177], v[176:177], v[104:107]// 0000000078F8: D3F30068 0DA361B0
	buffer_load_dwordx4 a[80:83], v39, s[24:27], 0 offen       // 000000007900: E05C1000 80865027
	v_mfma_f32_16x16x32_fp8_fp8 v[104:107], a[178:179], v[178:179], v[104:107]// 000000007908: D3F30068 0DA365B2
	v_mfma_f32_16x16x32_fp8_fp8 v[104:107], a[180:181], v[180:181], v[104:107]// 000000007910: D3F30068 0DA369B4
	v_mfma_f32_16x16x32_fp8_fp8 v[104:107], a[182:183], v[182:183], v[104:107]// 000000007918: D3F30068 0DA36DB6
	v_mfma_f32_16x16x32_fp8_fp8 v[104:107], a[184:185], v[184:185], v[104:107]// 000000007920: D3F30068 0DA371B8
	buffer_load_dwordx4 a[84:87], v39, s[24:27], 0 offen offset:1024// 000000007928: E05C1400 80865427
	v_mfma_f32_16x16x32_fp8_fp8 v[104:107], a[186:187], v[186:187], v[104:107]// 000000007930: D3F30068 0DA375BA
	v_mfma_f32_16x16x32_fp8_fp8 v[104:107], a[188:189], v[188:189], v[104:107]// 000000007938: D3F30068 0DA379BC
	v_mfma_f32_16x16x32_fp8_fp8 v[104:107], a[190:191], v[190:191], v[104:107]// 000000007940: D3F30068 0DA37DBE
	v_mfma_f32_16x16x32_fp8_fp8 v[108:111], a[176:177], v[192:193], v[108:111]// 000000007948: D3F3006C 0DB381B0
	buffer_load_dwordx4 a[88:91], v39, s[24:27], 0 offen offset:2048// 000000007950: E05C1800 80865827
	v_mfma_f32_16x16x32_fp8_fp8 v[108:111], a[178:179], v[194:195], v[108:111]// 000000007958: D3F3006C 0DB385B2
	v_mfma_f32_16x16x32_fp8_fp8 v[108:111], a[180:181], v[196:197], v[108:111]// 000000007960: D3F3006C 0DB389B4
	v_mfma_f32_16x16x32_fp8_fp8 v[108:111], a[182:183], v[198:199], v[108:111]// 000000007968: D3F3006C 0DB38DB6
	v_mfma_f32_16x16x32_fp8_fp8 v[108:111], a[184:185], v[200:201], v[108:111]// 000000007970: D3F3006C 0DB391B8
	buffer_load_dwordx4 a[92:95], v39, s[24:27], 0 offen offset:3072// 000000007978: E05C1C00 80865C27
	v_mfma_f32_16x16x32_fp8_fp8 v[108:111], a[186:187], v[202:203], v[108:111]// 000000007980: D3F3006C 0DB395BA
	v_mfma_f32_16x16x32_fp8_fp8 v[108:111], a[188:189], v[204:205], v[108:111]// 000000007988: D3F3006C 0DB399BC
	v_mfma_f32_16x16x32_fp8_fp8 v[108:111], a[190:191], v[206:207], v[108:111]// 000000007990: D3F3006C 0DB39DBE
	s_add_u32 s60, 0x200, s80                                  // 000000007998: 803C50FF 00000200
	s_cmp_lt_u32 s60, s81                                      // 0000000079A0: BF0A513C
	s_cselect_b32 s57, s57, 0                                  // 0000000079A4: 85398039
	s_add_u32 s60, 0x200, s80                                  // 0000000079A8: 803C50FF 00000200
	s_cmp_lt_u32 s60, s81                                      // 0000000079B0: BF0A513C
	s_cselect_b32 s58, s58, 0                                  // 0000000079B4: 853A803A
	s_add_u32 s20, s57, s20                                    // 0000000079B8: 80141439
	s_addc_u32 s21, 0, s21                                     // 0000000079BC: 82151580
	s_add_u32 s24, s58, s24                                    // 0000000079C0: 8018183A
	s_addc_u32 s25, 0, s25                                     // 0000000079C4: 82191980
	s_add_u32 s92, s90, s92                                    // 0000000079C8: 805C5C5A
	s_addc_u32 s93, 0, s93                                     // 0000000079CC: 825D5D80
	s_addk_i32 s80, 0x100                                      // 0000000079D0: B7500100
	s_cmp_lt_i32 s80, s81                                      // 0000000079D4: BF045150
	s_cbranch_scc0 label_15E4                                  // 0000000079D8: BF84022D
	s_waitcnt vmcnt(16) lgkmcnt(0)                             // 0000000079DC: BF8C4070
	s_barrier                                                  // 0000000079E0: BF8A0000
	v_mfma_f32_16x16x32_fp8_fp8 v[128:131], a[0:1], v[208:209], v[128:131]// 0000000079E4: D3F30080 0E03A100
	buffer_load_dwordx4 a[96:99], v34, s[92:95], 0 offen       // 0000000079EC: E05C1000 80976022
	v_mfma_f32_16x16x32_fp8_fp8 v[128:131], a[2:3], v[210:211], v[128:131]// 0000000079F4: D3F30080 0E03A502
	v_mfma_f32_16x16x32_fp8_fp8 v[128:131], a[4:5], v[212:213], v[128:131]// 0000000079FC: D3F30080 0E03A904
	buffer_load_dword v26, s[20:23], 0 offen lds               // 000000007A04: E0511000 8005001A
	s_add_u32 m0, 0x100, s50                                   // 000000007A0C: 807C32FF 00000100
	v_mfma_f32_16x16x32_fp8_fp8 v[128:131], a[6:7], v[214:215], v[128:131]// 000000007A14: D3F30080 0E03AD06
	v_mfma_f32_16x16x32_fp8_fp8 v[128:131], a[8:9], v[216:217], v[128:131]// 000000007A1C: D3F30080 0E03B108
	buffer_load_dwordx4 a[100:103], v34, s[92:95], 0 offen offset:1024// 000000007A24: E05C1400 80976422
	v_mfma_f32_16x16x32_fp8_fp8 v[128:131], a[10:11], v[218:219], v[128:131]// 000000007A2C: D3F30080 0E03B50A
	v_mfma_f32_16x16x32_fp8_fp8 v[128:131], a[12:13], v[220:221], v[128:131]// 000000007A34: D3F30080 0E03B90C
	buffer_load_dword v27, s[20:23], 0 offen lds               // 000000007A3C: E0511000 8005001B
	s_add_u32 m0, 0x200, s50                                   // 000000007A44: 807C32FF 00000200
	v_mfma_f32_16x16x32_fp8_fp8 v[128:131], a[14:15], v[222:223], v[128:131]// 000000007A4C: D3F30080 0E03BD0E
	v_mfma_f32_16x16x32_fp8_fp8 v[132:135], a[0:1], v[224:225], v[132:135]// 000000007A54: D3F30084 0E13C100
	buffer_load_dwordx4 a[104:107], v34, s[92:95], 0 offen offset:2048// 000000007A5C: E05C1800 80976822
	v_mfma_f32_16x16x32_fp8_fp8 v[132:135], a[2:3], v[226:227], v[132:135]// 000000007A64: D3F30084 0E13C502
	v_mfma_f32_16x16x32_fp8_fp8 v[132:135], a[4:5], v[228:229], v[132:135]// 000000007A6C: D3F30084 0E13C904
	buffer_load_dword v28, s[20:23], 0 offen lds               // 000000007A74: E0511000 8005001C
	s_add_u32 m0, 0x300, s50                                   // 000000007A7C: 807C32FF 00000300
	v_mfma_f32_16x16x32_fp8_fp8 v[132:135], a[6:7], v[230:231], v[132:135]// 000000007A84: D3F30084 0E13CD06
	v_mfma_f32_16x16x32_fp8_fp8 v[132:135], a[8:9], v[232:233], v[132:135]// 000000007A8C: D3F30084 0E13D108
	buffer_load_dwordx4 a[108:111], v34, s[92:95], 0 offen offset:3072// 000000007A94: E05C1C00 80976C22
	v_mfma_f32_16x16x32_fp8_fp8 v[132:135], a[10:11], v[234:235], v[132:135]// 000000007A9C: D3F30084 0E13D50A
	v_mfma_f32_16x16x32_fp8_fp8 v[132:135], a[12:13], v[236:237], v[132:135]// 000000007AA4: D3F30084 0E13D90C
	buffer_load_dword v29, s[20:23], 0 offen lds               // 000000007AAC: E0511000 8005001D
	s_add_u32 m0, 0x400, s50                                   // 000000007AB4: 807C32FF 00000400
	v_mfma_f32_16x16x32_fp8_fp8 v[132:135], a[14:15], v[238:239], v[132:135]// 000000007ABC: D3F30084 0E13DD0E
	v_mfma_f32_16x16x32_fp8_fp8 v[136:139], a[16:17], v[208:209], v[136:139]// 000000007AC4: D3F30088 0E23A110
	buffer_load_dwordx4 a[112:115], v35, s[92:95], 0 offen     // 000000007ACC: E05C1000 80977023
	v_mfma_f32_16x16x32_fp8_fp8 v[136:139], a[18:19], v[210:211], v[136:139]// 000000007AD4: D3F30088 0E23A512
	v_mfma_f32_16x16x32_fp8_fp8 v[136:139], a[20:21], v[212:213], v[136:139]// 000000007ADC: D3F30088 0E23A914
	buffer_load_dword v30, s[20:23], 0 offen lds               // 000000007AE4: E0511000 8005001E
	s_add_u32 m0, 0x500, s50                                   // 000000007AEC: 807C32FF 00000500
	v_mfma_f32_16x16x32_fp8_fp8 v[136:139], a[22:23], v[214:215], v[136:139]// 000000007AF4: D3F30088 0E23AD16
	v_mfma_f32_16x16x32_fp8_fp8 v[136:139], a[24:25], v[216:217], v[136:139]// 000000007AFC: D3F30088 0E23B118
	buffer_load_dwordx4 a[116:119], v35, s[92:95], 0 offen offset:1024// 000000007B04: E05C1400 80977423
	v_mfma_f32_16x16x32_fp8_fp8 v[136:139], a[26:27], v[218:219], v[136:139]// 000000007B0C: D3F30088 0E23B51A
	v_mfma_f32_16x16x32_fp8_fp8 v[136:139], a[28:29], v[220:221], v[136:139]// 000000007B14: D3F30088 0E23B91C
	buffer_load_dword v31, s[20:23], 0 offen lds               // 000000007B1C: E0511000 8005001F
	s_add_u32 m0, 0x600, s50                                   // 000000007B24: 807C32FF 00000600
	v_mfma_f32_16x16x32_fp8_fp8 v[136:139], a[30:31], v[222:223], v[136:139]// 000000007B2C: D3F30088 0E23BD1E
	v_mfma_f32_16x16x32_fp8_fp8 v[140:143], a[16:17], v[224:225], v[140:143]// 000000007B34: D3F3008C 0E33C110
	buffer_load_dwordx4 a[120:123], v35, s[92:95], 0 offen offset:2048// 000000007B3C: E05C1800 80977823
	v_mfma_f32_16x16x32_fp8_fp8 v[140:143], a[18:19], v[226:227], v[140:143]// 000000007B44: D3F3008C 0E33C512
	v_mfma_f32_16x16x32_fp8_fp8 v[140:143], a[20:21], v[228:229], v[140:143]// 000000007B4C: D3F3008C 0E33C914
	buffer_load_dword v32, s[20:23], 0 offen lds               // 000000007B54: E0511000 80050020
	s_add_u32 m0, 0x700, s50                                   // 000000007B5C: 807C32FF 00000700
	v_mfma_f32_16x16x32_fp8_fp8 v[140:143], a[22:23], v[230:231], v[140:143]// 000000007B64: D3F3008C 0E33CD16
	v_mfma_f32_16x16x32_fp8_fp8 v[140:143], a[24:25], v[232:233], v[140:143]// 000000007B6C: D3F3008C 0E33D118
	buffer_load_dwordx4 a[124:127], v35, s[92:95], 0 offen offset:3072// 000000007B74: E05C1C00 80977C23
	v_mfma_f32_16x16x32_fp8_fp8 v[140:143], a[26:27], v[234:235], v[140:143]// 000000007B7C: D3F3008C 0E33D51A
	v_mfma_f32_16x16x32_fp8_fp8 v[140:143], a[28:29], v[236:237], v[140:143]// 000000007B84: D3F3008C 0E33D91C
	buffer_load_dword v33, s[20:23], 0 offen lds               // 000000007B8C: E0511000 80050021
	s_add_u32 m0, 0, s51                                       // 000000007B94: 807C3380
	v_mfma_f32_16x16x32_fp8_fp8 v[140:143], a[30:31], v[238:239], v[140:143]// 000000007B98: D3F3008C 0E33DD1E
	s_waitcnt vmcnt(28)                                        // 000000007BA0: BF8C4F7C
	v_mfma_f32_16x16x32_fp8_fp8 v[144:147], a[32:33], v[208:209], v[144:147]// 000000007BA4: D3F30090 0E43A120
	buffer_load_dwordx4 a[128:131], v36, s[92:95], 0 offen     // 000000007BAC: E05C1000 80978024
	v_mfma_f32_16x16x32_fp8_fp8 v[144:147], a[34:35], v[210:211], v[144:147]// 000000007BB4: D3F30090 0E43A522
	v_mfma_f32_16x16x32_fp8_fp8 v[144:147], a[36:37], v[212:213], v[144:147]// 000000007BBC: D3F30090 0E43A924
	v_mfma_f32_16x16x32_fp8_fp8 v[144:147], a[38:39], v[214:215], v[144:147]// 000000007BC4: D3F30090 0E43AD26
	v_mfma_f32_16x16x32_fp8_fp8 v[144:147], a[40:41], v[216:217], v[144:147]// 000000007BCC: D3F30090 0E43B128
	buffer_load_dwordx4 a[132:135], v36, s[92:95], 0 offen offset:1024// 000000007BD4: E05C1400 80978424
	v_mfma_f32_16x16x32_fp8_fp8 v[144:147], a[42:43], v[218:219], v[144:147]// 000000007BDC: D3F30090 0E43B52A
	v_mfma_f32_16x16x32_fp8_fp8 v[144:147], a[44:45], v[220:221], v[144:147]// 000000007BE4: D3F30090 0E43B92C
	v_mfma_f32_16x16x32_fp8_fp8 v[144:147], a[46:47], v[222:223], v[144:147]// 000000007BEC: D3F30090 0E43BD2E
	v_mfma_f32_16x16x32_fp8_fp8 v[148:151], a[32:33], v[224:225], v[148:151]// 000000007BF4: D3F30094 0E53C120
	buffer_load_dwordx4 a[136:139], v36, s[92:95], 0 offen offset:2048// 000000007BFC: E05C1800 80978824
	v_mfma_f32_16x16x32_fp8_fp8 v[148:151], a[34:35], v[226:227], v[148:151]// 000000007C04: D3F30094 0E53C522
	v_mfma_f32_16x16x32_fp8_fp8 v[148:151], a[36:37], v[228:229], v[148:151]// 000000007C0C: D3F30094 0E53C924
	v_mfma_f32_16x16x32_fp8_fp8 v[148:151], a[38:39], v[230:231], v[148:151]// 000000007C14: D3F30094 0E53CD26
	v_mfma_f32_16x16x32_fp8_fp8 v[148:151], a[40:41], v[232:233], v[148:151]// 000000007C1C: D3F30094 0E53D128
	buffer_load_dwordx4 a[140:143], v36, s[92:95], 0 offen offset:3072// 000000007C24: E05C1C00 80978C24
	v_mfma_f32_16x16x32_fp8_fp8 v[148:151], a[42:43], v[234:235], v[148:151]// 000000007C2C: D3F30094 0E53D52A
	v_mfma_f32_16x16x32_fp8_fp8 v[148:151], a[44:45], v[236:237], v[148:151]// 000000007C34: D3F30094 0E53D92C
	v_mfma_f32_16x16x32_fp8_fp8 v[148:151], a[46:47], v[238:239], v[148:151]// 000000007C3C: D3F30094 0E53DD2E
	s_waitcnt vmcnt(28)                                        // 000000007C44: BF8C4F7C
	v_mfma_f32_16x16x32_fp8_fp8 v[152:155], a[48:49], v[208:209], v[152:155]// 000000007C48: D3F30098 0E63A130
	buffer_load_dwordx4 a[144:147], v37, s[92:95], 0 offen     // 000000007C50: E05C1000 80979025
	v_mfma_f32_16x16x32_fp8_fp8 v[152:155], a[50:51], v[210:211], v[152:155]// 000000007C58: D3F30098 0E63A532
	v_mfma_f32_16x16x32_fp8_fp8 v[152:155], a[52:53], v[212:213], v[152:155]// 000000007C60: D3F30098 0E63A934
	v_mfma_f32_16x16x32_fp8_fp8 v[152:155], a[54:55], v[214:215], v[152:155]// 000000007C68: D3F30098 0E63AD36
	v_mfma_f32_16x16x32_fp8_fp8 v[152:155], a[56:57], v[216:217], v[152:155]// 000000007C70: D3F30098 0E63B138
	buffer_load_dwordx4 a[148:151], v37, s[92:95], 0 offen offset:1024// 000000007C78: E05C1400 80979425
	v_mfma_f32_16x16x32_fp8_fp8 v[152:155], a[58:59], v[218:219], v[152:155]// 000000007C80: D3F30098 0E63B53A
	v_mfma_f32_16x16x32_fp8_fp8 v[152:155], a[60:61], v[220:221], v[152:155]// 000000007C88: D3F30098 0E63B93C
	v_mfma_f32_16x16x32_fp8_fp8 v[152:155], a[62:63], v[222:223], v[152:155]// 000000007C90: D3F30098 0E63BD3E
	v_mfma_f32_16x16x32_fp8_fp8 v[156:159], a[48:49], v[224:225], v[156:159]// 000000007C98: D3F3009C 0E73C130
	buffer_load_dwordx4 a[152:155], v37, s[92:95], 0 offen offset:2048// 000000007CA0: E05C1800 80979825
	v_mfma_f32_16x16x32_fp8_fp8 v[156:159], a[50:51], v[226:227], v[156:159]// 000000007CA8: D3F3009C 0E73C532
	v_mfma_f32_16x16x32_fp8_fp8 v[156:159], a[52:53], v[228:229], v[156:159]// 000000007CB0: D3F3009C 0E73C934
	v_mfma_f32_16x16x32_fp8_fp8 v[156:159], a[54:55], v[230:231], v[156:159]// 000000007CB8: D3F3009C 0E73CD36
	v_mfma_f32_16x16x32_fp8_fp8 v[156:159], a[56:57], v[232:233], v[156:159]// 000000007CC0: D3F3009C 0E73D138
	buffer_load_dwordx4 a[156:159], v37, s[92:95], 0 offen offset:3072// 000000007CC8: E05C1C00 80979C25
	v_mfma_f32_16x16x32_fp8_fp8 v[156:159], a[58:59], v[234:235], v[156:159]// 000000007CD0: D3F3009C 0E73D53A
	v_mfma_f32_16x16x32_fp8_fp8 v[156:159], a[60:61], v[236:237], v[156:159]// 000000007CD8: D3F3009C 0E73D93C
	v_mfma_f32_16x16x32_fp8_fp8 v[156:159], a[62:63], v[238:239], v[156:159]// 000000007CE0: D3F3009C 0E73DD3E
	s_waitcnt vmcnt(28)                                        // 000000007CE8: BF8C4F7C
	v_mfma_f32_16x16x32_fp8_fp8 v[160:163], a[64:65], v[208:209], v[160:163]// 000000007CEC: D3F300A0 0E83A140
	buffer_load_dwordx4 a[160:163], v38, s[92:95], 0 offen     // 000000007CF4: E05C1000 8097A026
	v_mfma_f32_16x16x32_fp8_fp8 v[160:163], a[66:67], v[210:211], v[160:163]// 000000007CFC: D3F300A0 0E83A542
	v_mfma_f32_16x16x32_fp8_fp8 v[160:163], a[68:69], v[212:213], v[160:163]// 000000007D04: D3F300A0 0E83A944
	v_mfma_f32_16x16x32_fp8_fp8 v[160:163], a[70:71], v[214:215], v[160:163]// 000000007D0C: D3F300A0 0E83AD46
	v_mfma_f32_16x16x32_fp8_fp8 v[160:163], a[72:73], v[216:217], v[160:163]// 000000007D14: D3F300A0 0E83B148
	buffer_load_dwordx4 a[164:167], v38, s[92:95], 0 offen offset:1024// 000000007D1C: E05C1400 8097A426
	v_mfma_f32_16x16x32_fp8_fp8 v[160:163], a[74:75], v[218:219], v[160:163]// 000000007D24: D3F300A0 0E83B54A
	v_mfma_f32_16x16x32_fp8_fp8 v[160:163], a[76:77], v[220:221], v[160:163]// 000000007D2C: D3F300A0 0E83B94C
	v_mfma_f32_16x16x32_fp8_fp8 v[160:163], a[78:79], v[222:223], v[160:163]// 000000007D34: D3F300A0 0E83BD4E
	v_mfma_f32_16x16x32_fp8_fp8 v[164:167], a[64:65], v[224:225], v[164:167]// 000000007D3C: D3F300A4 0E93C140
	buffer_load_dwordx4 a[168:171], v38, s[92:95], 0 offen offset:2048// 000000007D44: E05C1800 8097A826
	v_mfma_f32_16x16x32_fp8_fp8 v[164:167], a[66:67], v[226:227], v[164:167]// 000000007D4C: D3F300A4 0E93C542
	v_mfma_f32_16x16x32_fp8_fp8 v[164:167], a[68:69], v[228:229], v[164:167]// 000000007D54: D3F300A4 0E93C944
	v_mfma_f32_16x16x32_fp8_fp8 v[164:167], a[70:71], v[230:231], v[164:167]// 000000007D5C: D3F300A4 0E93CD46
	v_mfma_f32_16x16x32_fp8_fp8 v[164:167], a[72:73], v[232:233], v[164:167]// 000000007D64: D3F300A4 0E93D148
	buffer_load_dwordx4 a[172:175], v38, s[92:95], 0 offen offset:3072// 000000007D6C: E05C1C00 8097AC26
	v_mfma_f32_16x16x32_fp8_fp8 v[164:167], a[74:75], v[234:235], v[164:167]// 000000007D74: D3F300A4 0E93D54A
	v_mfma_f32_16x16x32_fp8_fp8 v[164:167], a[76:77], v[236:237], v[164:167]// 000000007D7C: D3F300A4 0E93D94C
	v_mfma_f32_16x16x32_fp8_fp8 v[164:167], a[78:79], v[238:239], v[164:167]// 000000007D84: D3F300A4 0E93DD4E
	s_waitcnt vmcnt(28)                                        // 000000007D8C: BF8C4F7C
	v_mfma_f32_16x16x32_fp8_fp8 v[168:171], a[80:81], v[208:209], v[168:171]// 000000007D90: D3F300A8 0EA3A150
	buffer_load_dwordx4 a[176:179], v39, s[92:95], 0 offen     // 000000007D98: E05C1000 8097B027
	v_mfma_f32_16x16x32_fp8_fp8 v[168:171], a[82:83], v[210:211], v[168:171]// 000000007DA0: D3F300A8 0EA3A552
	v_mfma_f32_16x16x32_fp8_fp8 v[168:171], a[84:85], v[212:213], v[168:171]// 000000007DA8: D3F300A8 0EA3A954
	v_mfma_f32_16x16x32_fp8_fp8 v[168:171], a[86:87], v[214:215], v[168:171]// 000000007DB0: D3F300A8 0EA3AD56
	v_mfma_f32_16x16x32_fp8_fp8 v[168:171], a[88:89], v[216:217], v[168:171]// 000000007DB8: D3F300A8 0EA3B158
	buffer_load_dwordx4 a[180:183], v39, s[92:95], 0 offen offset:1024// 000000007DC0: E05C1400 8097B427
	v_mfma_f32_16x16x32_fp8_fp8 v[168:171], a[90:91], v[218:219], v[168:171]// 000000007DC8: D3F300A8 0EA3B55A
	v_mfma_f32_16x16x32_fp8_fp8 v[168:171], a[92:93], v[220:221], v[168:171]// 000000007DD0: D3F300A8 0EA3B95C
	v_mfma_f32_16x16x32_fp8_fp8 v[168:171], a[94:95], v[222:223], v[168:171]// 000000007DD8: D3F300A8 0EA3BD5E
	v_mfma_f32_16x16x32_fp8_fp8 v[172:175], a[80:81], v[224:225], v[172:175]// 000000007DE0: D3F300AC 0EB3C150
	buffer_load_dwordx4 a[184:187], v39, s[92:95], 0 offen offset:2048// 000000007DE8: E05C1800 8097B827
	v_mfma_f32_16x16x32_fp8_fp8 v[172:175], a[82:83], v[226:227], v[172:175]// 000000007DF0: D3F300AC 0EB3C552
	v_mfma_f32_16x16x32_fp8_fp8 v[172:175], a[84:85], v[228:229], v[172:175]// 000000007DF8: D3F300AC 0EB3C954
	v_mfma_f32_16x16x32_fp8_fp8 v[172:175], a[86:87], v[230:231], v[172:175]// 000000007E00: D3F300AC 0EB3CD56
	v_mfma_f32_16x16x32_fp8_fp8 v[172:175], a[88:89], v[232:233], v[172:175]// 000000007E08: D3F300AC 0EB3D158
	buffer_load_dwordx4 a[188:191], v39, s[92:95], 0 offen offset:3072// 000000007E10: E05C1C00 8097BC27
	v_mfma_f32_16x16x32_fp8_fp8 v[172:175], a[90:91], v[234:235], v[172:175]// 000000007E18: D3F300AC 0EB3D55A
	v_mfma_f32_16x16x32_fp8_fp8 v[172:175], a[92:93], v[236:237], v[172:175]// 000000007E20: D3F300AC 0EB3D95C
	v_mfma_f32_16x16x32_fp8_fp8 v[172:175], a[94:95], v[238:239], v[172:175]// 000000007E28: D3F300AC 0EB3DD5E
	s_waitcnt vmcnt(16)                                        // 000000007E30: BF8C4F70
	s_barrier                                                  // 000000007E34: BF8A0000
	v_mfma_f32_16x16x32_fp8_fp8 v[64:67], a[96:97], v[208:209], v[64:67]// 000000007E38: D3F30040 0D03A160
	buffer_load_dwordx4 a[0:3], v34, s[24:27], 0 offen         // 000000007E40: E05C1000 80860022
	v_mfma_f32_16x16x32_fp8_fp8 v[64:67], a[98:99], v[210:211], v[64:67]// 000000007E48: D3F30040 0D03A562
	v_mfma_f32_16x16x32_fp8_fp8 v[64:67], a[100:101], v[212:213], v[64:67]// 000000007E50: D3F30040 0D03A964
	v_mfma_f32_16x16x32_fp8_fp8 v[64:67], a[102:103], v[214:215], v[64:67]// 000000007E58: D3F30040 0D03AD66
	v_mfma_f32_16x16x32_fp8_fp8 v[64:67], a[104:105], v[216:217], v[64:67]// 000000007E60: D3F30040 0D03B168
	buffer_load_dwordx4 a[4:7], v34, s[24:27], 0 offen offset:1024// 000000007E68: E05C1400 80860422
	v_mfma_f32_16x16x32_fp8_fp8 v[64:67], a[106:107], v[218:219], v[64:67]// 000000007E70: D3F30040 0D03B56A
	v_mfma_f32_16x16x32_fp8_fp8 v[64:67], a[108:109], v[220:221], v[64:67]// 000000007E78: D3F30040 0D03B96C
	v_mfma_f32_16x16x32_fp8_fp8 v[64:67], a[110:111], v[222:223], v[64:67]// 000000007E80: D3F30040 0D03BD6E
	v_mfma_f32_16x16x32_fp8_fp8 v[68:71], a[96:97], v[224:225], v[68:71]// 000000007E88: D3F30044 0D13C160
	buffer_load_dwordx4 a[8:11], v34, s[24:27], 0 offen offset:2048// 000000007E90: E05C1800 80860822
	v_mfma_f32_16x16x32_fp8_fp8 v[68:71], a[98:99], v[226:227], v[68:71]// 000000007E98: D3F30044 0D13C562
	v_mfma_f32_16x16x32_fp8_fp8 v[68:71], a[100:101], v[228:229], v[68:71]// 000000007EA0: D3F30044 0D13C964
	v_mfma_f32_16x16x32_fp8_fp8 v[68:71], a[102:103], v[230:231], v[68:71]// 000000007EA8: D3F30044 0D13CD66
	v_mfma_f32_16x16x32_fp8_fp8 v[68:71], a[104:105], v[232:233], v[68:71]// 000000007EB0: D3F30044 0D13D168
	buffer_load_dwordx4 a[12:15], v34, s[24:27], 0 offen offset:3072// 000000007EB8: E05C1C00 80860C22
	v_mfma_f32_16x16x32_fp8_fp8 v[68:71], a[106:107], v[234:235], v[68:71]// 000000007EC0: D3F30044 0D13D56A
	v_mfma_f32_16x16x32_fp8_fp8 v[68:71], a[108:109], v[236:237], v[68:71]// 000000007EC8: D3F30044 0D13D96C
	v_mfma_f32_16x16x32_fp8_fp8 v[68:71], a[110:111], v[238:239], v[68:71]// 000000007ED0: D3F30044 0D13DD6E
	v_mfma_f32_16x16x32_fp8_fp8 v[72:75], a[112:113], v[208:209], v[72:75]// 000000007ED8: D3F30048 0D23A170
	buffer_load_dwordx4 a[16:19], v35, s[24:27], 0 offen       // 000000007EE0: E05C1000 80861023
	v_mfma_f32_16x16x32_fp8_fp8 v[72:75], a[114:115], v[210:211], v[72:75]// 000000007EE8: D3F30048 0D23A572
	v_mfma_f32_16x16x32_fp8_fp8 v[72:75], a[116:117], v[212:213], v[72:75]// 000000007EF0: D3F30048 0D23A974
	v_mfma_f32_16x16x32_fp8_fp8 v[72:75], a[118:119], v[214:215], v[72:75]// 000000007EF8: D3F30048 0D23AD76
	v_mfma_f32_16x16x32_fp8_fp8 v[72:75], a[120:121], v[216:217], v[72:75]// 000000007F00: D3F30048 0D23B178
	buffer_load_dwordx4 a[20:23], v35, s[24:27], 0 offen offset:1024// 000000007F08: E05C1400 80861423
	v_mfma_f32_16x16x32_fp8_fp8 v[72:75], a[122:123], v[218:219], v[72:75]// 000000007F10: D3F30048 0D23B57A
	v_mfma_f32_16x16x32_fp8_fp8 v[72:75], a[124:125], v[220:221], v[72:75]// 000000007F18: D3F30048 0D23B97C
	v_mfma_f32_16x16x32_fp8_fp8 v[72:75], a[126:127], v[222:223], v[72:75]// 000000007F20: D3F30048 0D23BD7E
	v_mfma_f32_16x16x32_fp8_fp8 v[76:79], a[112:113], v[224:225], v[76:79]// 000000007F28: D3F3004C 0D33C170
	buffer_load_dwordx4 a[24:27], v35, s[24:27], 0 offen offset:2048// 000000007F30: E05C1800 80861823
	v_mfma_f32_16x16x32_fp8_fp8 v[76:79], a[114:115], v[226:227], v[76:79]// 000000007F38: D3F3004C 0D33C572
	v_mfma_f32_16x16x32_fp8_fp8 v[76:79], a[116:117], v[228:229], v[76:79]// 000000007F40: D3F3004C 0D33C974
	v_mfma_f32_16x16x32_fp8_fp8 v[76:79], a[118:119], v[230:231], v[76:79]// 000000007F48: D3F3004C 0D33CD76
	v_mfma_f32_16x16x32_fp8_fp8 v[76:79], a[120:121], v[232:233], v[76:79]// 000000007F50: D3F3004C 0D33D178
	buffer_load_dwordx4 a[28:31], v35, s[24:27], 0 offen offset:3072// 000000007F58: E05C1C00 80861C23
	v_mfma_f32_16x16x32_fp8_fp8 v[76:79], a[122:123], v[234:235], v[76:79]// 000000007F60: D3F3004C 0D33D57A
	v_mfma_f32_16x16x32_fp8_fp8 v[76:79], a[124:125], v[236:237], v[76:79]// 000000007F68: D3F3004C 0D33D97C
	v_mfma_f32_16x16x32_fp8_fp8 v[76:79], a[126:127], v[238:239], v[76:79]// 000000007F70: D3F3004C 0D33DD7E
	s_waitcnt vmcnt(20)                                        // 000000007F78: BF8C4F74
	v_mfma_f32_16x16x32_fp8_fp8 v[80:83], a[128:129], v[208:209], v[80:83]// 000000007F7C: D3F30050 0D43A180
	buffer_load_dwordx4 a[32:35], v36, s[24:27], 0 offen       // 000000007F84: E05C1000 80862024
	v_mfma_f32_16x16x32_fp8_fp8 v[80:83], a[130:131], v[210:211], v[80:83]// 000000007F8C: D3F30050 0D43A582
	v_mfma_f32_16x16x32_fp8_fp8 v[80:83], a[132:133], v[212:213], v[80:83]// 000000007F94: D3F30050 0D43A984
	ds_read_b128 v[176:179], v2                                // 000000007F9C: D9FE0000 B0000002
	v_mfma_f32_16x16x32_fp8_fp8 v[80:83], a[134:135], v[214:215], v[80:83]// 000000007FA4: D3F30050 0D43AD86
	v_mfma_f32_16x16x32_fp8_fp8 v[80:83], a[136:137], v[216:217], v[80:83]// 000000007FAC: D3F30050 0D43B188
	buffer_load_dwordx4 a[36:39], v36, s[24:27], 0 offen offset:1024// 000000007FB4: E05C1400 80862424
	v_mfma_f32_16x16x32_fp8_fp8 v[80:83], a[138:139], v[218:219], v[80:83]// 000000007FBC: D3F30050 0D43B58A
	v_mfma_f32_16x16x32_fp8_fp8 v[80:83], a[140:141], v[220:221], v[80:83]// 000000007FC4: D3F30050 0D43B98C
	ds_read_b128 v[180:183], v2 offset:64                      // 000000007FCC: D9FE0040 B4000002
	v_mfma_f32_16x16x32_fp8_fp8 v[80:83], a[142:143], v[222:223], v[80:83]// 000000007FD4: D3F30050 0D43BD8E
	v_mfma_f32_16x16x32_fp8_fp8 v[84:87], a[128:129], v[224:225], v[84:87]// 000000007FDC: D3F30054 0D53C180
	buffer_load_dwordx4 a[40:43], v36, s[24:27], 0 offen offset:2048// 000000007FE4: E05C1800 80862824
	v_mfma_f32_16x16x32_fp8_fp8 v[84:87], a[130:131], v[226:227], v[84:87]// 000000007FEC: D3F30054 0D53C582
	v_mfma_f32_16x16x32_fp8_fp8 v[84:87], a[132:133], v[228:229], v[84:87]// 000000007FF4: D3F30054 0D53C984
	ds_read_b128 v[184:187], v2 offset:128                     // 000000007FFC: D9FE0080 B8000002
	v_mfma_f32_16x16x32_fp8_fp8 v[84:87], a[134:135], v[230:231], v[84:87]// 000000008004: D3F30054 0D53CD86
	v_mfma_f32_16x16x32_fp8_fp8 v[84:87], a[136:137], v[232:233], v[84:87]// 00000000800C: D3F30054 0D53D188
	buffer_load_dwordx4 a[44:47], v36, s[24:27], 0 offen offset:3072// 000000008014: E05C1C00 80862C24
	v_mfma_f32_16x16x32_fp8_fp8 v[84:87], a[138:139], v[234:235], v[84:87]// 00000000801C: D3F30054 0D53D58A
	v_mfma_f32_16x16x32_fp8_fp8 v[84:87], a[140:141], v[236:237], v[84:87]// 000000008024: D3F30054 0D53D98C
	ds_read_b128 v[188:191], v2 offset:192                     // 00000000802C: D9FE00C0 BC000002
	v_mfma_f32_16x16x32_fp8_fp8 v[84:87], a[142:143], v[238:239], v[84:87]// 000000008034: D3F30054 0D53DD8E
	s_waitcnt vmcnt(20)                                        // 00000000803C: BF8C4F74
	v_mfma_f32_16x16x32_fp8_fp8 v[88:91], a[144:145], v[208:209], v[88:91]// 000000008040: D3F30058 0D63A190
	buffer_load_dwordx4 a[48:51], v37, s[24:27], 0 offen       // 000000008048: E05C1000 80863025
	v_mfma_f32_16x16x32_fp8_fp8 v[88:91], a[146:147], v[210:211], v[88:91]// 000000008050: D3F30058 0D63A592
	v_mfma_f32_16x16x32_fp8_fp8 v[88:91], a[148:149], v[212:213], v[88:91]// 000000008058: D3F30058 0D63A994
	ds_read_b128 v[192:195], v2 offset:1024                    // 000000008060: D9FE0400 C0000002
	v_mfma_f32_16x16x32_fp8_fp8 v[88:91], a[150:151], v[214:215], v[88:91]// 000000008068: D3F30058 0D63AD96
	v_mfma_f32_16x16x32_fp8_fp8 v[88:91], a[152:153], v[216:217], v[88:91]// 000000008070: D3F30058 0D63B198
	buffer_load_dwordx4 a[52:55], v37, s[24:27], 0 offen offset:1024// 000000008078: E05C1400 80863425
	v_mfma_f32_16x16x32_fp8_fp8 v[88:91], a[154:155], v[218:219], v[88:91]// 000000008080: D3F30058 0D63B59A
	v_mfma_f32_16x16x32_fp8_fp8 v[88:91], a[156:157], v[220:221], v[88:91]// 000000008088: D3F30058 0D63B99C
	ds_read_b128 v[196:199], v2 offset:1088                    // 000000008090: D9FE0440 C4000002
	v_mfma_f32_16x16x32_fp8_fp8 v[88:91], a[158:159], v[222:223], v[88:91]// 000000008098: D3F30058 0D63BD9E
	v_mfma_f32_16x16x32_fp8_fp8 v[92:95], a[144:145], v[224:225], v[92:95]// 0000000080A0: D3F3005C 0D73C190
	buffer_load_dwordx4 a[56:59], v37, s[24:27], 0 offen offset:2048// 0000000080A8: E05C1800 80863825
	v_mfma_f32_16x16x32_fp8_fp8 v[92:95], a[146:147], v[226:227], v[92:95]// 0000000080B0: D3F3005C 0D73C592
	v_mfma_f32_16x16x32_fp8_fp8 v[92:95], a[148:149], v[228:229], v[92:95]// 0000000080B8: D3F3005C 0D73C994
	ds_read_b128 v[200:203], v2 offset:1152                    // 0000000080C0: D9FE0480 C8000002
	v_mfma_f32_16x16x32_fp8_fp8 v[92:95], a[150:151], v[230:231], v[92:95]// 0000000080C8: D3F3005C 0D73CD96
	v_mfma_f32_16x16x32_fp8_fp8 v[92:95], a[152:153], v[232:233], v[92:95]// 0000000080D0: D3F3005C 0D73D198
	buffer_load_dwordx4 a[60:63], v37, s[24:27], 0 offen offset:3072// 0000000080D8: E05C1C00 80863C25
	v_mfma_f32_16x16x32_fp8_fp8 v[92:95], a[154:155], v[234:235], v[92:95]// 0000000080E0: D3F3005C 0D73D59A
	v_mfma_f32_16x16x32_fp8_fp8 v[92:95], a[156:157], v[236:237], v[92:95]// 0000000080E8: D3F3005C 0D73D99C
	ds_read_b128 v[204:207], v2 offset:1216                    // 0000000080F0: D9FE04C0 CC000002
	v_mfma_f32_16x16x32_fp8_fp8 v[92:95], a[158:159], v[238:239], v[92:95]// 0000000080F8: D3F3005C 0D73DD9E
	s_waitcnt vmcnt(20)                                        // 000000008100: BF8C4F74
	v_mfma_f32_16x16x32_fp8_fp8 v[96:99], a[160:161], v[208:209], v[96:99]// 000000008104: D3F30060 0D83A1A0
	buffer_load_dwordx4 a[64:67], v38, s[24:27], 0 offen       // 00000000810C: E05C1000 80864026
	v_mfma_f32_16x16x32_fp8_fp8 v[96:99], a[162:163], v[210:211], v[96:99]// 000000008114: D3F30060 0D83A5A2
	v_mfma_f32_16x16x32_fp8_fp8 v[96:99], a[164:165], v[212:213], v[96:99]// 00000000811C: D3F30060 0D83A9A4
	v_mfma_f32_16x16x32_fp8_fp8 v[96:99], a[166:167], v[214:215], v[96:99]// 000000008124: D3F30060 0D83ADA6
	v_mfma_f32_16x16x32_fp8_fp8 v[96:99], a[168:169], v[216:217], v[96:99]// 00000000812C: D3F30060 0D83B1A8
	buffer_load_dwordx4 a[68:71], v38, s[24:27], 0 offen offset:1024// 000000008134: E05C1400 80864426
	v_mfma_f32_16x16x32_fp8_fp8 v[96:99], a[170:171], v[218:219], v[96:99]// 00000000813C: D3F30060 0D83B5AA
	v_mfma_f32_16x16x32_fp8_fp8 v[96:99], a[172:173], v[220:221], v[96:99]// 000000008144: D3F30060 0D83B9AC
	v_mfma_f32_16x16x32_fp8_fp8 v[96:99], a[174:175], v[222:223], v[96:99]// 00000000814C: D3F30060 0D83BDAE
	v_mfma_f32_16x16x32_fp8_fp8 v[100:103], a[160:161], v[224:225], v[100:103]// 000000008154: D3F30064 0D93C1A0
	buffer_load_dwordx4 a[72:75], v38, s[24:27], 0 offen offset:2048// 00000000815C: E05C1800 80864826
	v_mfma_f32_16x16x32_fp8_fp8 v[100:103], a[162:163], v[226:227], v[100:103]// 000000008164: D3F30064 0D93C5A2
	v_mfma_f32_16x16x32_fp8_fp8 v[100:103], a[164:165], v[228:229], v[100:103]// 00000000816C: D3F30064 0D93C9A4
	v_mfma_f32_16x16x32_fp8_fp8 v[100:103], a[166:167], v[230:231], v[100:103]// 000000008174: D3F30064 0D93CDA6
	v_mfma_f32_16x16x32_fp8_fp8 v[100:103], a[168:169], v[232:233], v[100:103]// 00000000817C: D3F30064 0D93D1A8
	buffer_load_dwordx4 a[76:79], v38, s[24:27], 0 offen offset:3072// 000000008184: E05C1C00 80864C26
	v_mfma_f32_16x16x32_fp8_fp8 v[100:103], a[170:171], v[234:235], v[100:103]// 00000000818C: D3F30064 0D93D5AA
	v_mfma_f32_16x16x32_fp8_fp8 v[100:103], a[172:173], v[236:237], v[100:103]// 000000008194: D3F30064 0D93D9AC
	v_mfma_f32_16x16x32_fp8_fp8 v[100:103], a[174:175], v[238:239], v[100:103]// 00000000819C: D3F30064 0D93DDAE
	s_waitcnt vmcnt(20)                                        // 0000000081A4: BF8C4F74
	v_mfma_f32_16x16x32_fp8_fp8 v[104:107], a[176:177], v[208:209], v[104:107]// 0000000081A8: D3F30068 0DA3A1B0
	buffer_load_dwordx4 a[80:83], v39, s[24:27], 0 offen       // 0000000081B0: E05C1000 80865027
	v_mfma_f32_16x16x32_fp8_fp8 v[104:107], a[178:179], v[210:211], v[104:107]// 0000000081B8: D3F30068 0DA3A5B2
	v_mfma_f32_16x16x32_fp8_fp8 v[104:107], a[180:181], v[212:213], v[104:107]// 0000000081C0: D3F30068 0DA3A9B4
	v_mfma_f32_16x16x32_fp8_fp8 v[104:107], a[182:183], v[214:215], v[104:107]// 0000000081C8: D3F30068 0DA3ADB6
	v_mfma_f32_16x16x32_fp8_fp8 v[104:107], a[184:185], v[216:217], v[104:107]// 0000000081D0: D3F30068 0DA3B1B8
	buffer_load_dwordx4 a[84:87], v39, s[24:27], 0 offen offset:1024// 0000000081D8: E05C1400 80865427
	v_mfma_f32_16x16x32_fp8_fp8 v[104:107], a[186:187], v[218:219], v[104:107]// 0000000081E0: D3F30068 0DA3B5BA
	v_mfma_f32_16x16x32_fp8_fp8 v[104:107], a[188:189], v[220:221], v[104:107]// 0000000081E8: D3F30068 0DA3B9BC
	v_mfma_f32_16x16x32_fp8_fp8 v[104:107], a[190:191], v[222:223], v[104:107]// 0000000081F0: D3F30068 0DA3BDBE
	v_mfma_f32_16x16x32_fp8_fp8 v[108:111], a[176:177], v[224:225], v[108:111]// 0000000081F8: D3F3006C 0DB3C1B0
	buffer_load_dwordx4 a[88:91], v39, s[24:27], 0 offen offset:2048// 000000008200: E05C1800 80865827
	v_mfma_f32_16x16x32_fp8_fp8 v[108:111], a[178:179], v[226:227], v[108:111]// 000000008208: D3F3006C 0DB3C5B2
	v_mfma_f32_16x16x32_fp8_fp8 v[108:111], a[180:181], v[228:229], v[108:111]// 000000008210: D3F3006C 0DB3C9B4
	v_mfma_f32_16x16x32_fp8_fp8 v[108:111], a[182:183], v[230:231], v[108:111]// 000000008218: D3F3006C 0DB3CDB6
	v_mfma_f32_16x16x32_fp8_fp8 v[108:111], a[184:185], v[232:233], v[108:111]// 000000008220: D3F3006C 0DB3D1B8
	buffer_load_dwordx4 a[92:95], v39, s[24:27], 0 offen offset:3072// 000000008228: E05C1C00 80865C27
	v_mfma_f32_16x16x32_fp8_fp8 v[108:111], a[186:187], v[234:235], v[108:111]// 000000008230: D3F3006C 0DB3D5BA
	v_mfma_f32_16x16x32_fp8_fp8 v[108:111], a[188:189], v[236:237], v[108:111]// 000000008238: D3F3006C 0DB3D9BC
	v_mfma_f32_16x16x32_fp8_fp8 v[108:111], a[190:191], v[238:239], v[108:111]// 000000008240: D3F3006C 0DB3DDBE
	s_add_u32 s60, 0x200, s80                                  // 000000008248: 803C50FF 00000200
	s_cmp_lt_u32 s60, s81                                      // 000000008250: BF0A513C
	s_cselect_b32 s57, s57, 0                                  // 000000008254: 85398039
	s_add_u32 s60, 0x200, s80                                  // 000000008258: 803C50FF 00000200
	s_cmp_lt_u32 s60, s81                                      // 000000008260: BF0A513C
	s_cselect_b32 s58, s58, 0                                  // 000000008264: 853A803A
	s_add_u32 s20, s57, s20                                    // 000000008268: 80141439
	s_addc_u32 s21, 0, s21                                     // 00000000826C: 82151580
	s_add_u32 s24, s58, s24                                    // 000000008270: 8018183A
	s_addc_u32 s25, 0, s25                                     // 000000008274: 82191980
	s_add_u32 s92, s90, s92                                    // 000000008278: 805C5C5A
	s_addc_u32 s93, 0, s93                                     // 00000000827C: 825D5D80
	s_addk_i32 s80, 0x100                                      // 000000008280: B7500100
	s_cmp_lt_i32 s80, s81                                      // 000000008284: BF045150
	s_cbranch_scc0 label_15E4                                  // 000000008288: BF840001
	s_branch label_118B                                        // 00000000828C: BF82FBA7

0000000000008290 <label_15E4>:
	s_mov_b32 s36, -1                                          // 000000008290: BEA400C1
	s_mov_b32 s37, -1                                          // 000000008294: BEA500C1
	s_mov_b64 s[60:61], 0                                      // 000000008298: BEBC0180
	s_cmp_lt_u32 s82, s66                                      // 00000000829C: BF0A4252
	s_cselect_b64 s[20:21], s[36:37], s[60:61]                 // 0000000082A0: 85943C24
	s_cmp_lt_u32 s83, s66                                      // 0000000082A4: BF0A4253
	s_cselect_b64 s[22:23], s[36:37], s[60:61]                 // 0000000082A8: 85963C24
	s_cmp_lt_u32 s84, s66                                      // 0000000082AC: BF0A4254
	s_cselect_b64 s[24:25], s[36:37], s[60:61]                 // 0000000082B0: 85983C24
	s_cmp_lt_u32 s85, s66                                      // 0000000082B4: BF0A4255
	s_cselect_b64 s[26:27], s[36:37], s[60:61]                 // 0000000082B8: 859A3C24
	s_cmp_lt_u32 s86, s66                                      // 0000000082BC: BF0A4256
	s_cselect_b64 s[28:29], s[36:37], s[60:61]                 // 0000000082C0: 859C3C24
	s_cmp_lt_u32 s87, s66                                      // 0000000082C4: BF0A4257
	s_cselect_b64 s[30:31], s[36:37], s[60:61]                 // 0000000082C8: 859E3C24
	s_cmp_lt_u32 s88, s66                                      // 0000000082CC: BF0A4258
	s_cselect_b64 s[32:33], s[36:37], s[60:61]                 // 0000000082D0: 85A03C24
	s_cmp_lt_u32 s89, s66                                      // 0000000082D4: BF0A4259
	s_cselect_b64 s[34:35], s[36:37], s[60:61]                 // 0000000082D8: 85A23C24
	v_mul_f32_e32 v128, v14, v128                              // 0000000082DC: 0B01010E
	v_mul_f32_e32 v129, v14, v129                              // 0000000082E0: 0B03030E
	v_mul_f32_e32 v130, v14, v130                              // 0000000082E4: 0B05050E
	v_mul_f32_e32 v131, v14, v131                              // 0000000082E8: 0B07070E
	v_mul_f32_dpp v128, v16, v128 row_newbcast:0 row_mask:0xf bank_mask:0xf// 0000000082EC: 0B0100FA FF015010
	v_mul_f32_dpp v129, v16, v129 row_newbcast:1 row_mask:0xf bank_mask:0xf// 0000000082F4: 0B0302FA FF015110
	v_mul_f32_dpp v130, v16, v130 row_newbcast:2 row_mask:0xf bank_mask:0xf// 0000000082FC: 0B0504FA FF015210
	v_mul_f32_dpp v131, v16, v131 row_newbcast:3 row_mask:0xf bank_mask:0xf// 000000008304: 0B0706FA FF015310
	v_mul_f32_e32 v132, v15, v132                              // 00000000830C: 0B09090F
	v_mul_f32_e32 v133, v15, v133                              // 000000008310: 0B0B0B0F
	v_mul_f32_e32 v134, v15, v134                              // 000000008314: 0B0D0D0F
	v_mul_f32_e32 v135, v15, v135                              // 000000008318: 0B0F0F0F
	v_mul_f32_dpp v132, v16, v132 row_newbcast:0 row_mask:0xf bank_mask:0xf// 00000000831C: 0B0908FA FF015010
	v_mul_f32_dpp v133, v16, v133 row_newbcast:1 row_mask:0xf bank_mask:0xf// 000000008324: 0B0B0AFA FF015110
	v_mul_f32_dpp v134, v16, v134 row_newbcast:2 row_mask:0xf bank_mask:0xf// 00000000832C: 0B0D0CFA FF015210
	v_mul_f32_dpp v135, v16, v135 row_newbcast:3 row_mask:0xf bank_mask:0xf// 000000008334: 0B0F0EFA FF015310
	v_mul_f32_e32 v136, v14, v136                              // 00000000833C: 0B11110E
	v_mul_f32_e32 v137, v14, v137                              // 000000008340: 0B13130E
	v_mul_f32_e32 v138, v14, v138                              // 000000008344: 0B15150E
	v_mul_f32_e32 v139, v14, v139                              // 000000008348: 0B17170E
	v_mul_f32_dpp v136, v16, v136 row_newbcast:4 row_mask:0xf bank_mask:0xf// 00000000834C: 0B1110FA FF015410
	v_mul_f32_dpp v137, v16, v137 row_newbcast:5 row_mask:0xf bank_mask:0xf// 000000008354: 0B1312FA FF015510
	v_mul_f32_dpp v138, v16, v138 row_newbcast:6 row_mask:0xf bank_mask:0xf// 00000000835C: 0B1514FA FF015610
	v_mul_f32_dpp v139, v16, v139 row_newbcast:7 row_mask:0xf bank_mask:0xf// 000000008364: 0B1716FA FF015710
	v_mul_f32_e32 v140, v15, v140                              // 00000000836C: 0B19190F
	v_mul_f32_e32 v141, v15, v141                              // 000000008370: 0B1B1B0F
	v_mul_f32_e32 v142, v15, v142                              // 000000008374: 0B1D1D0F
	v_mul_f32_e32 v143, v15, v143                              // 000000008378: 0B1F1F0F
	v_mul_f32_dpp v140, v16, v140 row_newbcast:4 row_mask:0xf bank_mask:0xf// 00000000837C: 0B1918FA FF015410
	v_mul_f32_dpp v141, v16, v141 row_newbcast:5 row_mask:0xf bank_mask:0xf// 000000008384: 0B1B1AFA FF015510
	v_mul_f32_dpp v142, v16, v142 row_newbcast:6 row_mask:0xf bank_mask:0xf// 00000000838C: 0B1D1CFA FF015610
	v_mul_f32_dpp v143, v16, v143 row_newbcast:7 row_mask:0xf bank_mask:0xf// 000000008394: 0B1F1EFA FF015710
	v_mul_f32_e32 v144, v14, v144                              // 00000000839C: 0B21210E
	v_mul_f32_e32 v145, v14, v145                              // 0000000083A0: 0B23230E
	v_mul_f32_e32 v146, v14, v146                              // 0000000083A4: 0B25250E
	v_mul_f32_e32 v147, v14, v147                              // 0000000083A8: 0B27270E
	v_mul_f32_dpp v144, v16, v144 row_newbcast:8 row_mask:0xf bank_mask:0xf// 0000000083AC: 0B2120FA FF015810
	v_mul_f32_dpp v145, v16, v145 row_newbcast:9 row_mask:0xf bank_mask:0xf// 0000000083B4: 0B2322FA FF015910
	v_mul_f32_dpp v146, v16, v146 row_newbcast:10 row_mask:0xf bank_mask:0xf// 0000000083BC: 0B2524FA FF015A10
	v_mul_f32_dpp v147, v16, v147 row_newbcast:11 row_mask:0xf bank_mask:0xf// 0000000083C4: 0B2726FA FF015B10
	v_mul_f32_e32 v148, v15, v148                              // 0000000083CC: 0B29290F
	v_mul_f32_e32 v149, v15, v149                              // 0000000083D0: 0B2B2B0F
	v_mul_f32_e32 v150, v15, v150                              // 0000000083D4: 0B2D2D0F
	v_mul_f32_e32 v151, v15, v151                              // 0000000083D8: 0B2F2F0F
	v_mul_f32_dpp v148, v16, v148 row_newbcast:8 row_mask:0xf bank_mask:0xf// 0000000083DC: 0B2928FA FF015810
	v_mul_f32_dpp v149, v16, v149 row_newbcast:9 row_mask:0xf bank_mask:0xf// 0000000083E4: 0B2B2AFA FF015910
	v_mul_f32_dpp v150, v16, v150 row_newbcast:10 row_mask:0xf bank_mask:0xf// 0000000083EC: 0B2D2CFA FF015A10
	v_mul_f32_dpp v151, v16, v151 row_newbcast:11 row_mask:0xf bank_mask:0xf// 0000000083F4: 0B2F2EFA FF015B10
	v_mul_f32_e32 v152, v14, v152                              // 0000000083FC: 0B31310E
	v_mul_f32_e32 v153, v14, v153                              // 000000008400: 0B33330E
	v_mul_f32_e32 v154, v14, v154                              // 000000008404: 0B35350E
	v_mul_f32_e32 v155, v14, v155                              // 000000008408: 0B37370E
	v_mul_f32_dpp v152, v16, v152 row_newbcast:12 row_mask:0xf bank_mask:0xf// 00000000840C: 0B3130FA FF015C10
	v_mul_f32_dpp v153, v16, v153 row_newbcast:13 row_mask:0xf bank_mask:0xf// 000000008414: 0B3332FA FF015D10
	v_mul_f32_dpp v154, v16, v154 row_newbcast:14 row_mask:0xf bank_mask:0xf// 00000000841C: 0B3534FA FF015E10
	v_mul_f32_dpp v155, v16, v155 row_newbcast:15 row_mask:0xf bank_mask:0xf// 000000008424: 0B3736FA FF015F10
	v_mul_f32_e32 v156, v15, v156                              // 00000000842C: 0B39390F
	v_mul_f32_e32 v157, v15, v157                              // 000000008430: 0B3B3B0F
	v_mul_f32_e32 v158, v15, v158                              // 000000008434: 0B3D3D0F
	v_mul_f32_e32 v159, v15, v159                              // 000000008438: 0B3F3F0F
	v_mul_f32_dpp v156, v16, v156 row_newbcast:12 row_mask:0xf bank_mask:0xf// 00000000843C: 0B3938FA FF015C10
	v_mul_f32_dpp v157, v16, v157 row_newbcast:13 row_mask:0xf bank_mask:0xf// 000000008444: 0B3B3AFA FF015D10
	v_mul_f32_dpp v158, v16, v158 row_newbcast:14 row_mask:0xf bank_mask:0xf// 00000000844C: 0B3D3CFA FF015E10
	v_mul_f32_dpp v159, v16, v159 row_newbcast:15 row_mask:0xf bank_mask:0xf// 000000008454: 0B3F3EFA FF015F10
	v_mul_f32_e32 v160, v14, v160                              // 00000000845C: 0B41410E
	v_mul_f32_e32 v161, v14, v161                              // 000000008460: 0B43430E
	v_mul_f32_e32 v162, v14, v162                              // 000000008464: 0B45450E
	v_mul_f32_e32 v163, v14, v163                              // 000000008468: 0B47470E
	v_mul_f32_dpp v160, v17, v160 row_newbcast:0 row_mask:0xf bank_mask:0xf// 00000000846C: 0B4140FA FF015011
	v_mul_f32_dpp v161, v17, v161 row_newbcast:1 row_mask:0xf bank_mask:0xf// 000000008474: 0B4342FA FF015111
	v_mul_f32_dpp v162, v17, v162 row_newbcast:2 row_mask:0xf bank_mask:0xf// 00000000847C: 0B4544FA FF015211
	v_mul_f32_dpp v163, v17, v163 row_newbcast:3 row_mask:0xf bank_mask:0xf// 000000008484: 0B4746FA FF015311
	v_mul_f32_e32 v164, v15, v164                              // 00000000848C: 0B49490F
	v_mul_f32_e32 v165, v15, v165                              // 000000008490: 0B4B4B0F
	v_mul_f32_e32 v166, v15, v166                              // 000000008494: 0B4D4D0F
	v_mul_f32_e32 v167, v15, v167                              // 000000008498: 0B4F4F0F
	v_mul_f32_dpp v164, v17, v164 row_newbcast:0 row_mask:0xf bank_mask:0xf// 00000000849C: 0B4948FA FF015011
	v_mul_f32_dpp v165, v17, v165 row_newbcast:1 row_mask:0xf bank_mask:0xf// 0000000084A4: 0B4B4AFA FF015111
	v_mul_f32_dpp v166, v17, v166 row_newbcast:2 row_mask:0xf bank_mask:0xf// 0000000084AC: 0B4D4CFA FF015211
	v_mul_f32_dpp v167, v17, v167 row_newbcast:3 row_mask:0xf bank_mask:0xf// 0000000084B4: 0B4F4EFA FF015311
	v_mul_f32_e32 v168, v14, v168                              // 0000000084BC: 0B51510E
	v_mul_f32_e32 v169, v14, v169                              // 0000000084C0: 0B53530E
	v_mul_f32_e32 v170, v14, v170                              // 0000000084C4: 0B55550E
	v_mul_f32_e32 v171, v14, v171                              // 0000000084C8: 0B57570E
	v_mul_f32_dpp v168, v17, v168 row_newbcast:4 row_mask:0xf bank_mask:0xf// 0000000084CC: 0B5150FA FF015411
	v_mul_f32_dpp v169, v17, v169 row_newbcast:5 row_mask:0xf bank_mask:0xf// 0000000084D4: 0B5352FA FF015511
	v_mul_f32_dpp v170, v17, v170 row_newbcast:6 row_mask:0xf bank_mask:0xf// 0000000084DC: 0B5554FA FF015611
	v_mul_f32_dpp v171, v17, v171 row_newbcast:7 row_mask:0xf bank_mask:0xf// 0000000084E4: 0B5756FA FF015711
	v_mul_f32_e32 v172, v15, v172                              // 0000000084EC: 0B59590F
	v_mul_f32_e32 v173, v15, v173                              // 0000000084F0: 0B5B5B0F
	v_mul_f32_e32 v174, v15, v174                              // 0000000084F4: 0B5D5D0F
	v_mul_f32_e32 v175, v15, v175                              // 0000000084F8: 0B5F5F0F
	v_mul_f32_dpp v172, v17, v172 row_newbcast:4 row_mask:0xf bank_mask:0xf// 0000000084FC: 0B5958FA FF015411
	v_mul_f32_dpp v173, v17, v173 row_newbcast:5 row_mask:0xf bank_mask:0xf// 000000008504: 0B5B5AFA FF015511
	v_mul_f32_dpp v174, v17, v174 row_newbcast:6 row_mask:0xf bank_mask:0xf// 00000000850C: 0B5D5CFA FF015611
	v_mul_f32_dpp v175, v17, v175 row_newbcast:7 row_mask:0xf bank_mask:0xf// 000000008514: 0B5F5EFA FF015711
	v_mul_f32_e32 v64, v14, v64                                // 00000000851C: 0A80810E
	v_mul_f32_e32 v65, v14, v65                                // 000000008520: 0A82830E
	v_mul_f32_e32 v66, v14, v66                                // 000000008524: 0A84850E
	v_mul_f32_e32 v67, v14, v67                                // 000000008528: 0A86870E
	v_mul_f32_dpp v64, v48, v64 row_newbcast:0 row_mask:0xf bank_mask:0xf// 00000000852C: 0A8080FA FF015030
	v_mul_f32_dpp v65, v48, v65 row_newbcast:1 row_mask:0xf bank_mask:0xf// 000000008534: 0A8282FA FF015130
	v_mul_f32_dpp v66, v48, v66 row_newbcast:2 row_mask:0xf bank_mask:0xf// 00000000853C: 0A8484FA FF015230
	v_mul_f32_dpp v67, v48, v67 row_newbcast:3 row_mask:0xf bank_mask:0xf// 000000008544: 0A8686FA FF015330
	v_mul_f32_e32 v68, v15, v68                                // 00000000854C: 0A88890F
	v_mul_f32_e32 v69, v15, v69                                // 000000008550: 0A8A8B0F
	v_mul_f32_e32 v70, v15, v70                                // 000000008554: 0A8C8D0F
	v_mul_f32_e32 v71, v15, v71                                // 000000008558: 0A8E8F0F
	v_mul_f32_dpp v68, v48, v68 row_newbcast:0 row_mask:0xf bank_mask:0xf// 00000000855C: 0A8888FA FF015030
	v_mul_f32_dpp v69, v48, v69 row_newbcast:1 row_mask:0xf bank_mask:0xf// 000000008564: 0A8A8AFA FF015130
	v_mul_f32_dpp v70, v48, v70 row_newbcast:2 row_mask:0xf bank_mask:0xf// 00000000856C: 0A8C8CFA FF015230
	v_mul_f32_dpp v71, v48, v71 row_newbcast:3 row_mask:0xf bank_mask:0xf// 000000008574: 0A8E8EFA FF015330
	v_mul_f32_e32 v72, v14, v72                                // 00000000857C: 0A90910E
	v_mul_f32_e32 v73, v14, v73                                // 000000008580: 0A92930E
	v_mul_f32_e32 v74, v14, v74                                // 000000008584: 0A94950E
	v_mul_f32_e32 v75, v14, v75                                // 000000008588: 0A96970E
	v_mul_f32_dpp v72, v48, v72 row_newbcast:4 row_mask:0xf bank_mask:0xf// 00000000858C: 0A9090FA FF015430
	v_mul_f32_dpp v73, v48, v73 row_newbcast:5 row_mask:0xf bank_mask:0xf// 000000008594: 0A9292FA FF015530
	v_mul_f32_dpp v74, v48, v74 row_newbcast:6 row_mask:0xf bank_mask:0xf// 00000000859C: 0A9494FA FF015630
	v_mul_f32_dpp v75, v48, v75 row_newbcast:7 row_mask:0xf bank_mask:0xf// 0000000085A4: 0A9696FA FF015730
	v_mul_f32_e32 v76, v15, v76                                // 0000000085AC: 0A98990F
	v_mul_f32_e32 v77, v15, v77                                // 0000000085B0: 0A9A9B0F
	v_mul_f32_e32 v78, v15, v78                                // 0000000085B4: 0A9C9D0F
	v_mul_f32_e32 v79, v15, v79                                // 0000000085B8: 0A9E9F0F
	v_mul_f32_dpp v76, v48, v76 row_newbcast:4 row_mask:0xf bank_mask:0xf// 0000000085BC: 0A9898FA FF015430
	v_mul_f32_dpp v77, v48, v77 row_newbcast:5 row_mask:0xf bank_mask:0xf// 0000000085C4: 0A9A9AFA FF015530
	v_mul_f32_dpp v78, v48, v78 row_newbcast:6 row_mask:0xf bank_mask:0xf// 0000000085CC: 0A9C9CFA FF015630
	v_mul_f32_dpp v79, v48, v79 row_newbcast:7 row_mask:0xf bank_mask:0xf// 0000000085D4: 0A9E9EFA FF015730
	v_mul_f32_e32 v80, v14, v80                                // 0000000085DC: 0AA0A10E
	v_mul_f32_e32 v81, v14, v81                                // 0000000085E0: 0AA2A30E
	v_mul_f32_e32 v82, v14, v82                                // 0000000085E4: 0AA4A50E
	v_mul_f32_e32 v83, v14, v83                                // 0000000085E8: 0AA6A70E
	v_mul_f32_dpp v80, v48, v80 row_newbcast:8 row_mask:0xf bank_mask:0xf// 0000000085EC: 0AA0A0FA FF015830
	v_mul_f32_dpp v81, v48, v81 row_newbcast:9 row_mask:0xf bank_mask:0xf// 0000000085F4: 0AA2A2FA FF015930
	v_mul_f32_dpp v82, v48, v82 row_newbcast:10 row_mask:0xf bank_mask:0xf// 0000000085FC: 0AA4A4FA FF015A30
	v_mul_f32_dpp v83, v48, v83 row_newbcast:11 row_mask:0xf bank_mask:0xf// 000000008604: 0AA6A6FA FF015B30
	v_mul_f32_e32 v84, v15, v84                                // 00000000860C: 0AA8A90F
	v_mul_f32_e32 v85, v15, v85                                // 000000008610: 0AAAAB0F
	v_mul_f32_e32 v86, v15, v86                                // 000000008614: 0AACAD0F
	v_mul_f32_e32 v87, v15, v87                                // 000000008618: 0AAEAF0F
	v_mul_f32_dpp v84, v48, v84 row_newbcast:8 row_mask:0xf bank_mask:0xf// 00000000861C: 0AA8A8FA FF015830
	v_mul_f32_dpp v85, v48, v85 row_newbcast:9 row_mask:0xf bank_mask:0xf// 000000008624: 0AAAAAFA FF015930
	v_mul_f32_dpp v86, v48, v86 row_newbcast:10 row_mask:0xf bank_mask:0xf// 00000000862C: 0AACACFA FF015A30
	v_mul_f32_dpp v87, v48, v87 row_newbcast:11 row_mask:0xf bank_mask:0xf// 000000008634: 0AAEAEFA FF015B30
	v_mul_f32_e32 v88, v14, v88                                // 00000000863C: 0AB0B10E
	v_mul_f32_e32 v89, v14, v89                                // 000000008640: 0AB2B30E
	v_mul_f32_e32 v90, v14, v90                                // 000000008644: 0AB4B50E
	v_mul_f32_e32 v91, v14, v91                                // 000000008648: 0AB6B70E
	v_mul_f32_dpp v88, v48, v88 row_newbcast:12 row_mask:0xf bank_mask:0xf// 00000000864C: 0AB0B0FA FF015C30
	v_mul_f32_dpp v89, v48, v89 row_newbcast:13 row_mask:0xf bank_mask:0xf// 000000008654: 0AB2B2FA FF015D30
	v_mul_f32_dpp v90, v48, v90 row_newbcast:14 row_mask:0xf bank_mask:0xf// 00000000865C: 0AB4B4FA FF015E30
	v_mul_f32_dpp v91, v48, v91 row_newbcast:15 row_mask:0xf bank_mask:0xf// 000000008664: 0AB6B6FA FF015F30
	v_mul_f32_e32 v92, v15, v92                                // 00000000866C: 0AB8B90F
	v_mul_f32_e32 v93, v15, v93                                // 000000008670: 0ABABB0F
	v_mul_f32_e32 v94, v15, v94                                // 000000008674: 0ABCBD0F
	v_mul_f32_e32 v95, v15, v95                                // 000000008678: 0ABEBF0F
	v_mul_f32_dpp v92, v48, v92 row_newbcast:12 row_mask:0xf bank_mask:0xf// 00000000867C: 0AB8B8FA FF015C30
	v_mul_f32_dpp v93, v48, v93 row_newbcast:13 row_mask:0xf bank_mask:0xf// 000000008684: 0ABABAFA FF015D30
	v_mul_f32_dpp v94, v48, v94 row_newbcast:14 row_mask:0xf bank_mask:0xf// 00000000868C: 0ABCBCFA FF015E30
	v_mul_f32_dpp v95, v48, v95 row_newbcast:15 row_mask:0xf bank_mask:0xf// 000000008694: 0ABEBEFA FF015F30
	v_mul_f32_e32 v96, v14, v96                                // 00000000869C: 0AC0C10E
	v_mul_f32_e32 v97, v14, v97                                // 0000000086A0: 0AC2C30E
	v_mul_f32_e32 v98, v14, v98                                // 0000000086A4: 0AC4C50E
	v_mul_f32_e32 v99, v14, v99                                // 0000000086A8: 0AC6C70E
	v_mul_f32_dpp v96, v49, v96 row_newbcast:0 row_mask:0xf bank_mask:0xf// 0000000086AC: 0AC0C0FA FF015031
	v_mul_f32_dpp v97, v49, v97 row_newbcast:1 row_mask:0xf bank_mask:0xf// 0000000086B4: 0AC2C2FA FF015131
	v_mul_f32_dpp v98, v49, v98 row_newbcast:2 row_mask:0xf bank_mask:0xf// 0000000086BC: 0AC4C4FA FF015231
	v_mul_f32_dpp v99, v49, v99 row_newbcast:3 row_mask:0xf bank_mask:0xf// 0000000086C4: 0AC6C6FA FF015331
	v_mul_f32_e32 v100, v15, v100                              // 0000000086CC: 0AC8C90F
	v_mul_f32_e32 v101, v15, v101                              // 0000000086D0: 0ACACB0F
	v_mul_f32_e32 v102, v15, v102                              // 0000000086D4: 0ACCCD0F
	v_mul_f32_e32 v103, v15, v103                              // 0000000086D8: 0ACECF0F
	v_mul_f32_dpp v100, v49, v100 row_newbcast:0 row_mask:0xf bank_mask:0xf// 0000000086DC: 0AC8C8FA FF015031
	v_mul_f32_dpp v101, v49, v101 row_newbcast:1 row_mask:0xf bank_mask:0xf// 0000000086E4: 0ACACAFA FF015131
	v_mul_f32_dpp v102, v49, v102 row_newbcast:2 row_mask:0xf bank_mask:0xf// 0000000086EC: 0ACCCCFA FF015231
	v_mul_f32_dpp v103, v49, v103 row_newbcast:3 row_mask:0xf bank_mask:0xf// 0000000086F4: 0ACECEFA FF015331
	v_mul_f32_e32 v104, v14, v104                              // 0000000086FC: 0AD0D10E
	v_mul_f32_e32 v105, v14, v105                              // 000000008700: 0AD2D30E
	v_mul_f32_e32 v106, v14, v106                              // 000000008704: 0AD4D50E
	v_mul_f32_e32 v107, v14, v107                              // 000000008708: 0AD6D70E
	v_mul_f32_dpp v104, v49, v104 row_newbcast:4 row_mask:0xf bank_mask:0xf// 00000000870C: 0AD0D0FA FF015431
	v_mul_f32_dpp v105, v49, v105 row_newbcast:5 row_mask:0xf bank_mask:0xf// 000000008714: 0AD2D2FA FF015531
	v_mul_f32_dpp v106, v49, v106 row_newbcast:6 row_mask:0xf bank_mask:0xf// 00000000871C: 0AD4D4FA FF015631
	v_mul_f32_dpp v107, v49, v107 row_newbcast:7 row_mask:0xf bank_mask:0xf// 000000008724: 0AD6D6FA FF015731
	v_mul_f32_e32 v108, v15, v108                              // 00000000872C: 0AD8D90F
	v_mul_f32_e32 v109, v15, v109                              // 000000008730: 0ADADB0F
	v_mul_f32_e32 v110, v15, v110                              // 000000008734: 0ADCDD0F
	v_mul_f32_e32 v111, v15, v111                              // 000000008738: 0ADEDF0F
	v_mul_f32_dpp v108, v49, v108 row_newbcast:4 row_mask:0xf bank_mask:0xf// 00000000873C: 0AD8D8FA FF015431
	v_mul_f32_dpp v109, v49, v109 row_newbcast:5 row_mask:0xf bank_mask:0xf// 000000008744: 0ADADAFA FF015531
	v_mul_f32_dpp v110, v49, v110 row_newbcast:6 row_mask:0xf bank_mask:0xf// 00000000874C: 0ADCDCFA FF015631
	v_mul_f32_dpp v111, v49, v111 row_newbcast:7 row_mask:0xf bank_mask:0xf// 000000008754: 0ADEDEFA FF015731
	s_waitcnt vmcnt(20)                                        // 00000000875C: BF8C4F74
	buffer_load_dwordx4 a[0:3], v40, s[12:15], 0 offen         // 000000008760: E05C1000 80830028
	v_mul_f32_e64 v50, -v128, s6                               // 000000008768: D1050032 20000D80
	v_mul_f32_e64 v51, -v129, s6                               // 000000008770: D1050033 20000D81
	v_mul_f32_e64 v52, -v130, s6                               // 000000008778: D1050034 20000D82
	v_mul_f32_e64 v53, -v131, s6                               // 000000008780: D1050035 20000D83
	v_exp_f32_e32 v50, v50                                     // 000000008788: 7E644132
	v_exp_f32_e32 v51, v51                                     // 00000000878C: 7E664133
	v_exp_f32_e32 v52, v52                                     // 000000008790: 7E684134
	v_exp_f32_e32 v53, v53                                     // 000000008794: 7E6A4135
	buffer_load_dwordx4 a[4:7], v41, s[12:15], 0 offen         // 000000008798: E05C1000 80830429
	v_add_f32_e64 v50, v50, 1.0                                // 0000000087A0: D1010032 0001E532
	v_add_f32_e64 v51, v51, 1.0                                // 0000000087A8: D1010033 0001E533
	v_add_f32_e64 v52, v52, 1.0                                // 0000000087B0: D1010034 0001E534
	v_add_f32_e64 v53, v53, 1.0                                // 0000000087B8: D1010035 0001E535
	v_rcp_f32_e32 v50, v50                                     // 0000000087C0: 7E644532
	v_rcp_f32_e32 v51, v51                                     // 0000000087C4: 7E664533
	v_rcp_f32_e32 v52, v52                                     // 0000000087C8: 7E684534
	v_rcp_f32_e32 v53, v53                                     // 0000000087CC: 7E6A4535
	v_mul_f32_e32 v128, v128, v50                              // 0000000087D0: 0B006580
	v_mul_f32_e32 v129, v129, v51                              // 0000000087D4: 0B026781
	v_mul_f32_e32 v130, v130, v52                              // 0000000087D8: 0B046982
	v_mul_f32_e32 v131, v131, v53                              // 0000000087DC: 0B066B83
	v_mul_f32_e32 v128, v128, v64                              // 0000000087E0: 0B008180
	v_mul_f32_e32 v129, v129, v65                              // 0000000087E4: 0B028381
	v_mul_f32_e32 v130, v130, v66                              // 0000000087E8: 0B048582
	v_mul_f32_e32 v131, v131, v67                              // 0000000087EC: 0B068783
	buffer_load_dwordx4 a[8:11], v42, s[12:15], 0 offen        // 0000000087F0: E05C1000 8083082A
	v_mul_f32_e64 v50, -v132, s6                               // 0000000087F8: D1050032 20000D84
	v_mul_f32_e64 v51, -v133, s6                               // 000000008800: D1050033 20000D85
	v_mul_f32_e64 v52, -v134, s6                               // 000000008808: D1050034 20000D86
	v_mul_f32_e64 v53, -v135, s6                               // 000000008810: D1050035 20000D87
	v_exp_f32_e32 v50, v50                                     // 000000008818: 7E644132
	v_exp_f32_e32 v51, v51                                     // 00000000881C: 7E664133
	v_exp_f32_e32 v52, v52                                     // 000000008820: 7E684134
	v_exp_f32_e32 v53, v53                                     // 000000008824: 7E6A4135
	buffer_load_dwordx4 a[12:15], v43, s[12:15], 0 offen       // 000000008828: E05C1000 80830C2B
	s_add_u32 s12, s78, s12                                    // 000000008830: 800C0C4E
	s_addc_u32 s13, 0, s13                                     // 000000008834: 820D0D80
	v_add_f32_e64 v50, v50, 1.0                                // 000000008838: D1010032 0001E532
	v_add_f32_e64 v51, v51, 1.0                                // 000000008840: D1010033 0001E533
	v_add_f32_e64 v52, v52, 1.0                                // 000000008848: D1010034 0001E534
	v_add_f32_e64 v53, v53, 1.0                                // 000000008850: D1010035 0001E535
	v_rcp_f32_e32 v50, v50                                     // 000000008858: 7E644532
	v_rcp_f32_e32 v51, v51                                     // 00000000885C: 7E664533
	v_rcp_f32_e32 v52, v52                                     // 000000008860: 7E684534
	v_rcp_f32_e32 v53, v53                                     // 000000008864: 7E6A4535
	v_mul_f32_e32 v132, v132, v50                              // 000000008868: 0B086584
	v_mul_f32_e32 v133, v133, v51                              // 00000000886C: 0B0A6785
	v_mul_f32_e32 v134, v134, v52                              // 000000008870: 0B0C6986
	v_mul_f32_e32 v135, v135, v53                              // 000000008874: 0B0E6B87
	v_mul_f32_e32 v132, v132, v68                              // 000000008878: 0B088984
	v_mul_f32_e32 v133, v133, v69                              // 00000000887C: 0B0A8B85
	v_mul_f32_e32 v134, v134, v70                              // 000000008880: 0B0C8D86
	v_mul_f32_e32 v135, v135, v71                              // 000000008884: 0B0E8F87
	s_waitcnt vmcnt(20)                                        // 000000008888: BF8C4F74
	buffer_load_dwordx4 a[16:19], v40, s[12:15], 0 offen       // 00000000888C: E05C1000 80831028
	v_mul_f32_e64 v50, -v136, s6                               // 000000008894: D1050032 20000D88
	v_mul_f32_e64 v51, -v137, s6                               // 00000000889C: D1050033 20000D89
	v_mul_f32_e64 v52, -v138, s6                               // 0000000088A4: D1050034 20000D8A
	v_mul_f32_e64 v53, -v139, s6                               // 0000000088AC: D1050035 20000D8B
	v_exp_f32_e32 v50, v50                                     // 0000000088B4: 7E644132
	v_exp_f32_e32 v51, v51                                     // 0000000088B8: 7E664133
	v_exp_f32_e32 v52, v52                                     // 0000000088BC: 7E684134
	v_exp_f32_e32 v53, v53                                     // 0000000088C0: 7E6A4135
	buffer_load_dwordx4 a[20:23], v41, s[12:15], 0 offen       // 0000000088C4: E05C1000 80831429
	v_add_f32_e64 v50, v50, 1.0                                // 0000000088CC: D1010032 0001E532
	v_add_f32_e64 v51, v51, 1.0                                // 0000000088D4: D1010033 0001E533
	v_add_f32_e64 v52, v52, 1.0                                // 0000000088DC: D1010034 0001E534
	v_add_f32_e64 v53, v53, 1.0                                // 0000000088E4: D1010035 0001E535
	v_rcp_f32_e32 v50, v50                                     // 0000000088EC: 7E644532
	v_rcp_f32_e32 v51, v51                                     // 0000000088F0: 7E664533
	v_rcp_f32_e32 v52, v52                                     // 0000000088F4: 7E684534
	v_rcp_f32_e32 v53, v53                                     // 0000000088F8: 7E6A4535
	v_mul_f32_e32 v136, v136, v50                              // 0000000088FC: 0B106588
	v_mul_f32_e32 v137, v137, v51                              // 000000008900: 0B126789
	v_mul_f32_e32 v138, v138, v52                              // 000000008904: 0B14698A
	v_mul_f32_e32 v139, v139, v53                              // 000000008908: 0B166B8B
	v_mul_f32_e32 v136, v136, v72                              // 00000000890C: 0B109188
	v_mul_f32_e32 v137, v137, v73                              // 000000008910: 0B129389
	v_mul_f32_e32 v138, v138, v74                              // 000000008914: 0B14958A
	v_mul_f32_e32 v139, v139, v75                              // 000000008918: 0B16978B
	buffer_load_dwordx4 a[24:27], v42, s[12:15], 0 offen       // 00000000891C: E05C1000 8083182A
	v_mul_f32_e64 v50, -v140, s6                               // 000000008924: D1050032 20000D8C
	v_mul_f32_e64 v51, -v141, s6                               // 00000000892C: D1050033 20000D8D
	v_mul_f32_e64 v52, -v142, s6                               // 000000008934: D1050034 20000D8E
	v_mul_f32_e64 v53, -v143, s6                               // 00000000893C: D1050035 20000D8F
	v_exp_f32_e32 v50, v50                                     // 000000008944: 7E644132
	v_exp_f32_e32 v51, v51                                     // 000000008948: 7E664133
	v_exp_f32_e32 v52, v52                                     // 00000000894C: 7E684134
	v_exp_f32_e32 v53, v53                                     // 000000008950: 7E6A4135
	buffer_load_dwordx4 a[28:31], v43, s[12:15], 0 offen       // 000000008954: E05C1000 80831C2B
	s_add_u32 s12, s78, s12                                    // 00000000895C: 800C0C4E
	s_addc_u32 s13, 0, s13                                     // 000000008960: 820D0D80
	v_add_f32_e64 v50, v50, 1.0                                // 000000008964: D1010032 0001E532
	v_add_f32_e64 v51, v51, 1.0                                // 00000000896C: D1010033 0001E533
	v_add_f32_e64 v52, v52, 1.0                                // 000000008974: D1010034 0001E534
	v_add_f32_e64 v53, v53, 1.0                                // 00000000897C: D1010035 0001E535
	v_rcp_f32_e32 v50, v50                                     // 000000008984: 7E644532
	v_rcp_f32_e32 v51, v51                                     // 000000008988: 7E664533
	v_rcp_f32_e32 v52, v52                                     // 00000000898C: 7E684534
	v_rcp_f32_e32 v53, v53                                     // 000000008990: 7E6A4535
	v_mul_f32_e32 v140, v140, v50                              // 000000008994: 0B18658C
	v_mul_f32_e32 v141, v141, v51                              // 000000008998: 0B1A678D
	v_mul_f32_e32 v142, v142, v52                              // 00000000899C: 0B1C698E
	v_mul_f32_e32 v143, v143, v53                              // 0000000089A0: 0B1E6B8F
	v_mul_f32_e32 v140, v140, v76                              // 0000000089A4: 0B18998C
	v_mul_f32_e32 v141, v141, v77                              // 0000000089A8: 0B1A9B8D
	v_mul_f32_e32 v142, v142, v78                              // 0000000089AC: 0B1C9D8E
	v_mul_f32_e32 v143, v143, v79                              // 0000000089B0: 0B1E9F8F
	s_waitcnt vmcnt(20)                                        // 0000000089B4: BF8C4F74
	buffer_load_dwordx4 a[32:35], v40, s[12:15], 0 offen       // 0000000089B8: E05C1000 80832028
	v_mul_f32_e64 v50, -v144, s6                               // 0000000089C0: D1050032 20000D90
	v_mul_f32_e64 v51, -v145, s6                               // 0000000089C8: D1050033 20000D91
	v_mul_f32_e64 v52, -v146, s6                               // 0000000089D0: D1050034 20000D92
	v_mul_f32_e64 v53, -v147, s6                               // 0000000089D8: D1050035 20000D93
	v_exp_f32_e32 v50, v50                                     // 0000000089E0: 7E644132
	v_exp_f32_e32 v51, v51                                     // 0000000089E4: 7E664133
	v_exp_f32_e32 v52, v52                                     // 0000000089E8: 7E684134
	v_exp_f32_e32 v53, v53                                     // 0000000089EC: 7E6A4135
	buffer_load_dwordx4 a[36:39], v41, s[12:15], 0 offen       // 0000000089F0: E05C1000 80832429
	v_add_f32_e64 v50, v50, 1.0                                // 0000000089F8: D1010032 0001E532
	v_add_f32_e64 v51, v51, 1.0                                // 000000008A00: D1010033 0001E533
	v_add_f32_e64 v52, v52, 1.0                                // 000000008A08: D1010034 0001E534
	v_add_f32_e64 v53, v53, 1.0                                // 000000008A10: D1010035 0001E535
	v_rcp_f32_e32 v50, v50                                     // 000000008A18: 7E644532
	v_rcp_f32_e32 v51, v51                                     // 000000008A1C: 7E664533
	v_rcp_f32_e32 v52, v52                                     // 000000008A20: 7E684534
	v_rcp_f32_e32 v53, v53                                     // 000000008A24: 7E6A4535
	v_mul_f32_e32 v144, v144, v50                              // 000000008A28: 0B206590
	v_mul_f32_e32 v145, v145, v51                              // 000000008A2C: 0B226791
	v_mul_f32_e32 v146, v146, v52                              // 000000008A30: 0B246992
	v_mul_f32_e32 v147, v147, v53                              // 000000008A34: 0B266B93
	v_mul_f32_e32 v144, v144, v80                              // 000000008A38: 0B20A190
	v_mul_f32_e32 v145, v145, v81                              // 000000008A3C: 0B22A391
	v_mul_f32_e32 v146, v146, v82                              // 000000008A40: 0B24A592
	v_mul_f32_e32 v147, v147, v83                              // 000000008A44: 0B26A793
	buffer_load_dwordx4 a[40:43], v42, s[12:15], 0 offen       // 000000008A48: E05C1000 8083282A
	v_mul_f32_e64 v50, -v148, s6                               // 000000008A50: D1050032 20000D94
	v_mul_f32_e64 v51, -v149, s6                               // 000000008A58: D1050033 20000D95
	v_mul_f32_e64 v52, -v150, s6                               // 000000008A60: D1050034 20000D96
	v_mul_f32_e64 v53, -v151, s6                               // 000000008A68: D1050035 20000D97
	v_exp_f32_e32 v50, v50                                     // 000000008A70: 7E644132
	v_exp_f32_e32 v51, v51                                     // 000000008A74: 7E664133
	v_exp_f32_e32 v52, v52                                     // 000000008A78: 7E684134
	v_exp_f32_e32 v53, v53                                     // 000000008A7C: 7E6A4135
	buffer_load_dwordx4 a[44:47], v43, s[12:15], 0 offen       // 000000008A80: E05C1000 80832C2B
	s_add_u32 s12, s78, s12                                    // 000000008A88: 800C0C4E
	s_addc_u32 s13, 0, s13                                     // 000000008A8C: 820D0D80
	v_add_f32_e64 v50, v50, 1.0                                // 000000008A90: D1010032 0001E532
	v_add_f32_e64 v51, v51, 1.0                                // 000000008A98: D1010033 0001E533
	v_add_f32_e64 v52, v52, 1.0                                // 000000008AA0: D1010034 0001E534
	v_add_f32_e64 v53, v53, 1.0                                // 000000008AA8: D1010035 0001E535
	v_rcp_f32_e32 v50, v50                                     // 000000008AB0: 7E644532
	v_rcp_f32_e32 v51, v51                                     // 000000008AB4: 7E664533
	v_rcp_f32_e32 v52, v52                                     // 000000008AB8: 7E684534
	v_rcp_f32_e32 v53, v53                                     // 000000008ABC: 7E6A4535
	v_mul_f32_e32 v148, v148, v50                              // 000000008AC0: 0B286594
	v_mul_f32_e32 v149, v149, v51                              // 000000008AC4: 0B2A6795
	v_mul_f32_e32 v150, v150, v52                              // 000000008AC8: 0B2C6996
	v_mul_f32_e32 v151, v151, v53                              // 000000008ACC: 0B2E6B97
	v_mul_f32_e32 v148, v148, v84                              // 000000008AD0: 0B28A994
	v_mul_f32_e32 v149, v149, v85                              // 000000008AD4: 0B2AAB95
	v_mul_f32_e32 v150, v150, v86                              // 000000008AD8: 0B2CAD96
	v_mul_f32_e32 v151, v151, v87                              // 000000008ADC: 0B2EAF97
	s_waitcnt vmcnt(20)                                        // 000000008AE0: BF8C4F74
	buffer_load_dwordx4 a[48:51], v40, s[12:15], 0 offen       // 000000008AE4: E05C1000 80833028
	v_mul_f32_e64 v50, -v152, s6                               // 000000008AEC: D1050032 20000D98
	v_mul_f32_e64 v51, -v153, s6                               // 000000008AF4: D1050033 20000D99
	v_mul_f32_e64 v52, -v154, s6                               // 000000008AFC: D1050034 20000D9A
	v_mul_f32_e64 v53, -v155, s6                               // 000000008B04: D1050035 20000D9B
	v_exp_f32_e32 v50, v50                                     // 000000008B0C: 7E644132
	v_exp_f32_e32 v51, v51                                     // 000000008B10: 7E664133
	v_exp_f32_e32 v52, v52                                     // 000000008B14: 7E684134
	v_exp_f32_e32 v53, v53                                     // 000000008B18: 7E6A4135
	buffer_load_dwordx4 a[52:55], v41, s[12:15], 0 offen       // 000000008B1C: E05C1000 80833429
	v_add_f32_e64 v50, v50, 1.0                                // 000000008B24: D1010032 0001E532
	v_add_f32_e64 v51, v51, 1.0                                // 000000008B2C: D1010033 0001E533
	v_add_f32_e64 v52, v52, 1.0                                // 000000008B34: D1010034 0001E534
	v_add_f32_e64 v53, v53, 1.0                                // 000000008B3C: D1010035 0001E535
	v_rcp_f32_e32 v50, v50                                     // 000000008B44: 7E644532
	v_rcp_f32_e32 v51, v51                                     // 000000008B48: 7E664533
	v_rcp_f32_e32 v52, v52                                     // 000000008B4C: 7E684534
	v_rcp_f32_e32 v53, v53                                     // 000000008B50: 7E6A4535
	v_mul_f32_e32 v152, v152, v50                              // 000000008B54: 0B306598
	v_mul_f32_e32 v153, v153, v51                              // 000000008B58: 0B326799
	v_mul_f32_e32 v154, v154, v52                              // 000000008B5C: 0B34699A
	v_mul_f32_e32 v155, v155, v53                              // 000000008B60: 0B366B9B
	v_mul_f32_e32 v152, v152, v88                              // 000000008B64: 0B30B198
	v_mul_f32_e32 v153, v153, v89                              // 000000008B68: 0B32B399
	v_mul_f32_e32 v154, v154, v90                              // 000000008B6C: 0B34B59A
	v_mul_f32_e32 v155, v155, v91                              // 000000008B70: 0B36B79B
	buffer_load_dwordx4 a[56:59], v42, s[12:15], 0 offen       // 000000008B74: E05C1000 8083382A
	v_mul_f32_e64 v50, -v156, s6                               // 000000008B7C: D1050032 20000D9C
	v_mul_f32_e64 v51, -v157, s6                               // 000000008B84: D1050033 20000D9D
	v_mul_f32_e64 v52, -v158, s6                               // 000000008B8C: D1050034 20000D9E
	v_mul_f32_e64 v53, -v159, s6                               // 000000008B94: D1050035 20000D9F
	v_exp_f32_e32 v50, v50                                     // 000000008B9C: 7E644132
	v_exp_f32_e32 v51, v51                                     // 000000008BA0: 7E664133
	v_exp_f32_e32 v52, v52                                     // 000000008BA4: 7E684134
	v_exp_f32_e32 v53, v53                                     // 000000008BA8: 7E6A4135
	buffer_load_dwordx4 a[60:63], v43, s[12:15], 0 offen       // 000000008BAC: E05C1000 80833C2B
	s_add_u32 s12, s78, s12                                    // 000000008BB4: 800C0C4E
	s_addc_u32 s13, 0, s13                                     // 000000008BB8: 820D0D80
	v_add_f32_e64 v50, v50, 1.0                                // 000000008BBC: D1010032 0001E532
	v_add_f32_e64 v51, v51, 1.0                                // 000000008BC4: D1010033 0001E533
	v_add_f32_e64 v52, v52, 1.0                                // 000000008BCC: D1010034 0001E534
	v_add_f32_e64 v53, v53, 1.0                                // 000000008BD4: D1010035 0001E535
	v_rcp_f32_e32 v50, v50                                     // 000000008BDC: 7E644532
	v_rcp_f32_e32 v51, v51                                     // 000000008BE0: 7E664533
	v_rcp_f32_e32 v52, v52                                     // 000000008BE4: 7E684534
	v_rcp_f32_e32 v53, v53                                     // 000000008BE8: 7E6A4535
	v_mul_f32_e32 v156, v156, v50                              // 000000008BEC: 0B38659C
	v_mul_f32_e32 v157, v157, v51                              // 000000008BF0: 0B3A679D
	v_mul_f32_e32 v158, v158, v52                              // 000000008BF4: 0B3C699E
	v_mul_f32_e32 v159, v159, v53                              // 000000008BF8: 0B3E6B9F
	v_mul_f32_e32 v156, v156, v92                              // 000000008BFC: 0B38B99C
	v_mul_f32_e32 v157, v157, v93                              // 000000008C00: 0B3ABB9D
	v_mul_f32_e32 v158, v158, v94                              // 000000008C04: 0B3CBD9E
	v_mul_f32_e32 v159, v159, v95                              // 000000008C08: 0B3EBF9F
	s_waitcnt vmcnt(20)                                        // 000000008C0C: BF8C4F74
	buffer_load_dwordx4 a[64:67], v40, s[12:15], 0 offen       // 000000008C10: E05C1000 80834028
	v_mul_f32_e64 v50, -v160, s6                               // 000000008C18: D1050032 20000DA0
	v_mul_f32_e64 v51, -v161, s6                               // 000000008C20: D1050033 20000DA1
	v_mul_f32_e64 v52, -v162, s6                               // 000000008C28: D1050034 20000DA2
	v_mul_f32_e64 v53, -v163, s6                               // 000000008C30: D1050035 20000DA3
	v_exp_f32_e32 v50, v50                                     // 000000008C38: 7E644132
	v_exp_f32_e32 v51, v51                                     // 000000008C3C: 7E664133
	v_exp_f32_e32 v52, v52                                     // 000000008C40: 7E684134
	v_exp_f32_e32 v53, v53                                     // 000000008C44: 7E6A4135
	buffer_load_dwordx4 a[68:71], v41, s[12:15], 0 offen       // 000000008C48: E05C1000 80834429
	v_add_f32_e64 v50, v50, 1.0                                // 000000008C50: D1010032 0001E532
	v_add_f32_e64 v51, v51, 1.0                                // 000000008C58: D1010033 0001E533
	v_add_f32_e64 v52, v52, 1.0                                // 000000008C60: D1010034 0001E534
	v_add_f32_e64 v53, v53, 1.0                                // 000000008C68: D1010035 0001E535
	v_rcp_f32_e32 v50, v50                                     // 000000008C70: 7E644532
	v_rcp_f32_e32 v51, v51                                     // 000000008C74: 7E664533
	v_rcp_f32_e32 v52, v52                                     // 000000008C78: 7E684534
	v_rcp_f32_e32 v53, v53                                     // 000000008C7C: 7E6A4535
	v_mul_f32_e32 v160, v160, v50                              // 000000008C80: 0B4065A0
	v_mul_f32_e32 v161, v161, v51                              // 000000008C84: 0B4267A1
	v_mul_f32_e32 v162, v162, v52                              // 000000008C88: 0B4469A2
	v_mul_f32_e32 v163, v163, v53                              // 000000008C8C: 0B466BA3
	v_mul_f32_e32 v160, v160, v96                              // 000000008C90: 0B40C1A0
	v_mul_f32_e32 v161, v161, v97                              // 000000008C94: 0B42C3A1
	v_mul_f32_e32 v162, v162, v98                              // 000000008C98: 0B44C5A2
	v_mul_f32_e32 v163, v163, v99                              // 000000008C9C: 0B46C7A3
	buffer_load_dwordx4 a[72:75], v42, s[12:15], 0 offen       // 000000008CA0: E05C1000 8083482A
	v_mul_f32_e64 v50, -v164, s6                               // 000000008CA8: D1050032 20000DA4
	v_mul_f32_e64 v51, -v165, s6                               // 000000008CB0: D1050033 20000DA5
	v_mul_f32_e64 v52, -v166, s6                               // 000000008CB8: D1050034 20000DA6
	v_mul_f32_e64 v53, -v167, s6                               // 000000008CC0: D1050035 20000DA7
	v_exp_f32_e32 v50, v50                                     // 000000008CC8: 7E644132
	v_exp_f32_e32 v51, v51                                     // 000000008CCC: 7E664133
	v_exp_f32_e32 v52, v52                                     // 000000008CD0: 7E684134
	v_exp_f32_e32 v53, v53                                     // 000000008CD4: 7E6A4135
	buffer_load_dwordx4 a[76:79], v43, s[12:15], 0 offen       // 000000008CD8: E05C1000 80834C2B
	s_add_u32 s12, s78, s12                                    // 000000008CE0: 800C0C4E
	s_addc_u32 s13, 0, s13                                     // 000000008CE4: 820D0D80
	v_add_f32_e64 v50, v50, 1.0                                // 000000008CE8: D1010032 0001E532
	v_add_f32_e64 v51, v51, 1.0                                // 000000008CF0: D1010033 0001E533
	v_add_f32_e64 v52, v52, 1.0                                // 000000008CF8: D1010034 0001E534
	v_add_f32_e64 v53, v53, 1.0                                // 000000008D00: D1010035 0001E535
	v_rcp_f32_e32 v50, v50                                     // 000000008D08: 7E644532
	v_rcp_f32_e32 v51, v51                                     // 000000008D0C: 7E664533
	v_rcp_f32_e32 v52, v52                                     // 000000008D10: 7E684534
	v_rcp_f32_e32 v53, v53                                     // 000000008D14: 7E6A4535
	v_mul_f32_e32 v164, v164, v50                              // 000000008D18: 0B4865A4
	v_mul_f32_e32 v165, v165, v51                              // 000000008D1C: 0B4A67A5
	v_mul_f32_e32 v166, v166, v52                              // 000000008D20: 0B4C69A6
	v_mul_f32_e32 v167, v167, v53                              // 000000008D24: 0B4E6BA7
	v_mul_f32_e32 v164, v164, v100                             // 000000008D28: 0B48C9A4
	v_mul_f32_e32 v165, v165, v101                             // 000000008D2C: 0B4ACBA5
	v_mul_f32_e32 v166, v166, v102                             // 000000008D30: 0B4CCDA6
	v_mul_f32_e32 v167, v167, v103                             // 000000008D34: 0B4ECFA7
	s_waitcnt vmcnt(20)                                        // 000000008D38: BF8C4F74
	buffer_load_dwordx4 a[80:83], v40, s[12:15], 0 offen       // 000000008D3C: E05C1000 80835028
	v_mul_f32_e64 v50, -v168, s6                               // 000000008D44: D1050032 20000DA8
	v_mul_f32_e64 v51, -v169, s6                               // 000000008D4C: D1050033 20000DA9
	v_mul_f32_e64 v52, -v170, s6                               // 000000008D54: D1050034 20000DAA
	v_mul_f32_e64 v53, -v171, s6                               // 000000008D5C: D1050035 20000DAB
	v_exp_f32_e32 v50, v50                                     // 000000008D64: 7E644132
	v_exp_f32_e32 v51, v51                                     // 000000008D68: 7E664133
	v_exp_f32_e32 v52, v52                                     // 000000008D6C: 7E684134
	v_exp_f32_e32 v53, v53                                     // 000000008D70: 7E6A4135
	buffer_load_dwordx4 a[84:87], v41, s[12:15], 0 offen       // 000000008D74: E05C1000 80835429
	v_add_f32_e64 v50, v50, 1.0                                // 000000008D7C: D1010032 0001E532
	v_add_f32_e64 v51, v51, 1.0                                // 000000008D84: D1010033 0001E533
	v_add_f32_e64 v52, v52, 1.0                                // 000000008D8C: D1010034 0001E534
	v_add_f32_e64 v53, v53, 1.0                                // 000000008D94: D1010035 0001E535
	v_rcp_f32_e32 v50, v50                                     // 000000008D9C: 7E644532
	v_rcp_f32_e32 v51, v51                                     // 000000008DA0: 7E664533
	v_rcp_f32_e32 v52, v52                                     // 000000008DA4: 7E684534
	v_rcp_f32_e32 v53, v53                                     // 000000008DA8: 7E6A4535
	v_mul_f32_e32 v168, v168, v50                              // 000000008DAC: 0B5065A8
	v_mul_f32_e32 v169, v169, v51                              // 000000008DB0: 0B5267A9
	v_mul_f32_e32 v170, v170, v52                              // 000000008DB4: 0B5469AA
	v_mul_f32_e32 v171, v171, v53                              // 000000008DB8: 0B566BAB
	v_mul_f32_e32 v168, v168, v104                             // 000000008DBC: 0B50D1A8
	v_mul_f32_e32 v169, v169, v105                             // 000000008DC0: 0B52D3A9
	v_mul_f32_e32 v170, v170, v106                             // 000000008DC4: 0B54D5AA
	v_mul_f32_e32 v171, v171, v107                             // 000000008DC8: 0B56D7AB
	buffer_load_dwordx4 a[88:91], v42, s[12:15], 0 offen       // 000000008DCC: E05C1000 8083582A
	v_mul_f32_e64 v50, -v172, s6                               // 000000008DD4: D1050032 20000DAC
	v_mul_f32_e64 v51, -v173, s6                               // 000000008DDC: D1050033 20000DAD
	v_mul_f32_e64 v52, -v174, s6                               // 000000008DE4: D1050034 20000DAE
	v_mul_f32_e64 v53, -v175, s6                               // 000000008DEC: D1050035 20000DAF
	v_exp_f32_e32 v50, v50                                     // 000000008DF4: 7E644132
	v_exp_f32_e32 v51, v51                                     // 000000008DF8: 7E664133
	v_exp_f32_e32 v52, v52                                     // 000000008DFC: 7E684134
	v_exp_f32_e32 v53, v53                                     // 000000008E00: 7E6A4135
	buffer_load_dwordx4 a[92:95], v43, s[12:15], 0 offen       // 000000008E04: E05C1000 80835C2B
	v_add_f32_e64 v50, v50, 1.0                                // 000000008E0C: D1010032 0001E532
	v_add_f32_e64 v51, v51, 1.0                                // 000000008E14: D1010033 0001E533
	v_add_f32_e64 v52, v52, 1.0                                // 000000008E1C: D1010034 0001E534
	v_add_f32_e64 v53, v53, 1.0                                // 000000008E24: D1010035 0001E535
	v_rcp_f32_e32 v50, v50                                     // 000000008E2C: 7E644532
	v_rcp_f32_e32 v51, v51                                     // 000000008E30: 7E664533
	v_rcp_f32_e32 v52, v52                                     // 000000008E34: 7E684534
	v_rcp_f32_e32 v53, v53                                     // 000000008E38: 7E6A4535
	v_mul_f32_e32 v172, v172, v50                              // 000000008E3C: 0B5865AC
	v_mul_f32_e32 v173, v173, v51                              // 000000008E40: 0B5A67AD
	v_mul_f32_e32 v174, v174, v52                              // 000000008E44: 0B5C69AE
	v_mul_f32_e32 v175, v175, v53                              // 000000008E48: 0B5E6BAF
	v_mul_f32_e32 v172, v172, v108                             // 000000008E4C: 0B58D9AC
	v_mul_f32_e32 v173, v173, v109                             // 000000008E50: 0B5ADBAD
	v_mul_f32_e32 v174, v174, v110                             // 000000008E54: 0B5CDDAE
	v_mul_f32_e32 v175, v175, v111                             // 000000008E58: 0B5EDFAF
	v_mul_f32_dpp v128, v18, v128 row_newbcast:0 row_mask:0xf bank_mask:0xf// 000000008E5C: 0B0100FA FF015012
	v_mul_f32_dpp v129, v18, v129 row_newbcast:1 row_mask:0xf bank_mask:0xf// 000000008E64: 0B0302FA FF015112
	v_mul_f32_dpp v130, v18, v130 row_newbcast:2 row_mask:0xf bank_mask:0xf// 000000008E6C: 0B0504FA FF015212
	v_mul_f32_dpp v131, v18, v131 row_newbcast:3 row_mask:0xf bank_mask:0xf// 000000008E74: 0B0706FA FF015312
	v_mul_f32_dpp v132, v18, v132 row_newbcast:0 row_mask:0xf bank_mask:0xf// 000000008E7C: 0B0908FA FF015012
	v_mul_f32_dpp v133, v18, v133 row_newbcast:1 row_mask:0xf bank_mask:0xf// 000000008E84: 0B0B0AFA FF015112
	v_mul_f32_dpp v134, v18, v134 row_newbcast:2 row_mask:0xf bank_mask:0xf// 000000008E8C: 0B0D0CFA FF015212
	v_mul_f32_dpp v135, v18, v135 row_newbcast:3 row_mask:0xf bank_mask:0xf// 000000008E94: 0B0F0EFA FF015312
	v_mul_f32_dpp v136, v18, v136 row_newbcast:4 row_mask:0xf bank_mask:0xf// 000000008E9C: 0B1110FA FF015412
	v_mul_f32_dpp v137, v18, v137 row_newbcast:5 row_mask:0xf bank_mask:0xf// 000000008EA4: 0B1312FA FF015512
	v_mul_f32_dpp v138, v18, v138 row_newbcast:6 row_mask:0xf bank_mask:0xf// 000000008EAC: 0B1514FA FF015612
	v_mul_f32_dpp v139, v18, v139 row_newbcast:7 row_mask:0xf bank_mask:0xf// 000000008EB4: 0B1716FA FF015712
	v_mul_f32_dpp v140, v18, v140 row_newbcast:4 row_mask:0xf bank_mask:0xf// 000000008EBC: 0B1918FA FF015412
	v_mul_f32_dpp v141, v18, v141 row_newbcast:5 row_mask:0xf bank_mask:0xf// 000000008EC4: 0B1B1AFA FF015512
	v_mul_f32_dpp v142, v18, v142 row_newbcast:6 row_mask:0xf bank_mask:0xf// 000000008ECC: 0B1D1CFA FF015612
	v_mul_f32_dpp v143, v18, v143 row_newbcast:7 row_mask:0xf bank_mask:0xf// 000000008ED4: 0B1F1EFA FF015712
	v_mul_f32_dpp v144, v18, v144 row_newbcast:8 row_mask:0xf bank_mask:0xf// 000000008EDC: 0B2120FA FF015812
	v_mul_f32_dpp v145, v18, v145 row_newbcast:9 row_mask:0xf bank_mask:0xf// 000000008EE4: 0B2322FA FF015912
	v_mul_f32_dpp v146, v18, v146 row_newbcast:10 row_mask:0xf bank_mask:0xf// 000000008EEC: 0B2524FA FF015A12
	v_mul_f32_dpp v147, v18, v147 row_newbcast:11 row_mask:0xf bank_mask:0xf// 000000008EF4: 0B2726FA FF015B12
	v_mul_f32_dpp v148, v18, v148 row_newbcast:8 row_mask:0xf bank_mask:0xf// 000000008EFC: 0B2928FA FF015812
	v_mul_f32_dpp v149, v18, v149 row_newbcast:9 row_mask:0xf bank_mask:0xf// 000000008F04: 0B2B2AFA FF015912
	v_mul_f32_dpp v150, v18, v150 row_newbcast:10 row_mask:0xf bank_mask:0xf// 000000008F0C: 0B2D2CFA FF015A12
	v_mul_f32_dpp v151, v18, v151 row_newbcast:11 row_mask:0xf bank_mask:0xf// 000000008F14: 0B2F2EFA FF015B12
	v_mul_f32_dpp v152, v18, v152 row_newbcast:12 row_mask:0xf bank_mask:0xf// 000000008F1C: 0B3130FA FF015C12
	v_mul_f32_dpp v153, v18, v153 row_newbcast:13 row_mask:0xf bank_mask:0xf// 000000008F24: 0B3332FA FF015D12
	v_mul_f32_dpp v154, v18, v154 row_newbcast:14 row_mask:0xf bank_mask:0xf// 000000008F2C: 0B3534FA FF015E12
	v_mul_f32_dpp v155, v18, v155 row_newbcast:15 row_mask:0xf bank_mask:0xf// 000000008F34: 0B3736FA FF015F12
	v_mul_f32_dpp v156, v18, v156 row_newbcast:12 row_mask:0xf bank_mask:0xf// 000000008F3C: 0B3938FA FF015C12
	v_mul_f32_dpp v157, v18, v157 row_newbcast:13 row_mask:0xf bank_mask:0xf// 000000008F44: 0B3B3AFA FF015D12
	v_mul_f32_dpp v158, v18, v158 row_newbcast:14 row_mask:0xf bank_mask:0xf// 000000008F4C: 0B3D3CFA FF015E12
	v_mul_f32_dpp v159, v18, v159 row_newbcast:15 row_mask:0xf bank_mask:0xf// 000000008F54: 0B3F3EFA FF015F12
	v_mul_f32_dpp v160, v19, v160 row_newbcast:0 row_mask:0xf bank_mask:0xf// 000000008F5C: 0B4140FA FF015013
	v_mul_f32_dpp v161, v19, v161 row_newbcast:1 row_mask:0xf bank_mask:0xf// 000000008F64: 0B4342FA FF015113
	v_mul_f32_dpp v162, v19, v162 row_newbcast:2 row_mask:0xf bank_mask:0xf// 000000008F6C: 0B4544FA FF015213
	v_mul_f32_dpp v163, v19, v163 row_newbcast:3 row_mask:0xf bank_mask:0xf// 000000008F74: 0B4746FA FF015313
	v_mul_f32_dpp v164, v19, v164 row_newbcast:0 row_mask:0xf bank_mask:0xf// 000000008F7C: 0B4948FA FF015013
	v_mul_f32_dpp v165, v19, v165 row_newbcast:1 row_mask:0xf bank_mask:0xf// 000000008F84: 0B4B4AFA FF015113
	v_mul_f32_dpp v166, v19, v166 row_newbcast:2 row_mask:0xf bank_mask:0xf// 000000008F8C: 0B4D4CFA FF015213
	v_mul_f32_dpp v167, v19, v167 row_newbcast:3 row_mask:0xf bank_mask:0xf// 000000008F94: 0B4F4EFA FF015313
	v_mul_f32_dpp v168, v19, v168 row_newbcast:4 row_mask:0xf bank_mask:0xf// 000000008F9C: 0B5150FA FF015413
	v_mul_f32_dpp v169, v19, v169 row_newbcast:5 row_mask:0xf bank_mask:0xf// 000000008FA4: 0B5352FA FF015513
	v_mul_f32_dpp v170, v19, v170 row_newbcast:6 row_mask:0xf bank_mask:0xf// 000000008FAC: 0B5554FA FF015613
	v_mul_f32_dpp v171, v19, v171 row_newbcast:7 row_mask:0xf bank_mask:0xf// 000000008FB4: 0B5756FA FF015713
	v_mul_f32_dpp v172, v19, v172 row_newbcast:4 row_mask:0xf bank_mask:0xf// 000000008FBC: 0B5958FA FF015413
	v_mul_f32_dpp v173, v19, v173 row_newbcast:5 row_mask:0xf bank_mask:0xf// 000000008FC4: 0B5B5AFA FF015513
	v_mul_f32_dpp v174, v19, v174 row_newbcast:6 row_mask:0xf bank_mask:0xf// 000000008FCC: 0B5D5CFA FF015613
	v_mul_f32_dpp v175, v19, v175 row_newbcast:7 row_mask:0xf bank_mask:0xf// 000000008FD4: 0B5F5EFA FF015713
	v_lshlrev_b32_e32 v50, 2, v0                               // 000000008FDC: 24640082
	s_mul_i32 s60, s82, s71                                    // 000000008FE0: 923C4752
	v_add_u32_e64 v80, v50, s60                                // 000000008FE4: D1340050 00007932
	v_mov_b32_e32 v81, 0                                       // 000000008FEC: 7EA20280
	s_mul_i32 s60, s83, s71                                    // 000000008FF0: 923C4753
	v_add_u32_e64 v82, v50, s60                                // 000000008FF4: D1340052 00007932
	v_mov_b32_e32 v83, 0                                       // 000000008FFC: 7EA60280
	s_mul_i32 s60, s84, s71                                    // 000000009000: 923C4754
	v_add_u32_e64 v84, v50, s60                                // 000000009004: D1340054 00007932
	v_mov_b32_e32 v85, 0                                       // 00000000900C: 7EAA0280
	s_mul_i32 s60, s85, s71                                    // 000000009010: 923C4755
	v_add_u32_e64 v86, v50, s60                                // 000000009014: D1340056 00007932
	v_mov_b32_e32 v87, 0                                       // 00000000901C: 7EAE0280
	s_mul_i32 s60, s86, s71                                    // 000000009020: 923C4756
	v_add_u32_e64 v88, v50, s60                                // 000000009024: D1340058 00007932
	v_mov_b32_e32 v89, 0                                       // 00000000902C: 7EB20280
	s_mul_i32 s60, s87, s71                                    // 000000009030: 923C4757
	v_add_u32_e64 v90, v50, s60                                // 000000009034: D134005A 00007932
	v_mov_b32_e32 v91, 0                                       // 00000000903C: 7EB60280
	s_mul_i32 s60, s88, s71                                    // 000000009040: 923C4758
	v_add_u32_e64 v92, v50, s60                                // 000000009044: D134005C 00007932
	v_mov_b32_e32 v93, 0                                       // 00000000904C: 7EBA0280
	s_mul_i32 s60, s89, s71                                    // 000000009050: 923C4759
	v_add_u32_e64 v94, v50, s60                                // 000000009054: D134005E 00007932
	v_mov_b32_e32 v95, 0                                       // 00000000905C: 7EBE0280
	buffer_load_dword v12, v5, s[16:19], 0 offen               // 000000009060: E0501000 80040C05
	v_mov_b32_e32 v22, 0x358637bd                              // 000000009068: 7E2C02FF 358637BD
	v_mov_b32_e32 v23, 0x358637bd                              // 000000009070: 7E2E02FF 358637BD
	v_max3_f32 v22, |v128|, |v129|, v22                        // 000000009078: D1D30316 045B0380
	v_max3_f32 v22, |v130|, |v131|, v22                        // 000000009080: D1D30316 045B0782
	v_max3_f32 v23, |v132|, |v133|, v23                        // 000000009088: D1D30317 045F0B84
	v_max3_f32 v23, |v134|, |v135|, v23                        // 000000009090: D1D30317 045F0F86
	v_max3_f32 v22, |v136|, |v137|, v22                        // 000000009098: D1D30316 045B1388
	v_max3_f32 v22, |v138|, |v139|, v22                        // 0000000090A0: D1D30316 045B178A
	v_max3_f32 v23, |v140|, |v141|, v23                        // 0000000090A8: D1D30317 045F1B8C
	v_max3_f32 v23, |v142|, |v143|, v23                        // 0000000090B0: D1D30317 045F1F8E
	v_max3_f32 v22, |v144|, |v145|, v22                        // 0000000090B8: D1D30316 045B2390
	v_max3_f32 v22, |v146|, |v147|, v22                        // 0000000090C0: D1D30316 045B2792
	v_max3_f32 v23, |v148|, |v149|, v23                        // 0000000090C8: D1D30317 045F2B94
	v_max3_f32 v23, |v150|, |v151|, v23                        // 0000000090D0: D1D30317 045F2F96
	v_max3_f32 v22, |v152|, |v153|, v22                        // 0000000090D8: D1D30316 045B3398
	v_max3_f32 v22, |v154|, |v155|, v22                        // 0000000090E0: D1D30316 045B379A
	v_max3_f32 v23, |v156|, |v157|, v23                        // 0000000090E8: D1D30317 045F3B9C
	v_max3_f32 v23, |v158|, |v159|, v23                        // 0000000090F0: D1D30317 045F3F9E
	v_max3_f32 v22, |v160|, |v161|, v22                        // 0000000090F8: D1D30316 045B43A0
	v_max3_f32 v22, |v162|, |v163|, v22                        // 000000009100: D1D30316 045B47A2
	v_max3_f32 v23, |v164|, |v165|, v23                        // 000000009108: D1D30317 045F4BA4
	v_max3_f32 v23, |v166|, |v167|, v23                        // 000000009110: D1D30317 045F4FA6
	v_max3_f32 v22, |v168|, |v169|, v22                        // 000000009118: D1D30316 045B53A8
	v_max3_f32 v22, |v170|, |v171|, v22                        // 000000009120: D1D30316 045B57AA
	v_max3_f32 v23, |v172|, |v173|, v23                        // 000000009128: D1D30317 045F5BAC
	v_max3_f32 v23, |v174|, |v175|, v23                        // 000000009130: D1D30317 045F5FAE
	v_lshlrev_b32_e32 v50, 3, v0                               // 000000009138: 24640083
	s_mul_i32 s60, 0x200, s7                                   // 00000000913C: 923C07FF 00000200
	v_add_u32_e32 v50, s60, v50                                // 000000009144: 6864643C
	ds_write_b64 v50, v[22:23] offset:16640                    // 000000009148: D89A4100 00001632
	s_waitcnt lgkmcnt(0)                                       // 000000009150: BF8CC07F
	s_barrier                                                  // 000000009154: BF8A0000
	v_and_b32_e32 v50, 15, v0                                  // 000000009158: 2664008F
	v_lshlrev_b32_e32 v50, 3, v50                              // 00000000915C: 24646483
	ds_read_b64 v[96:97], v50 offset:16640                     // 000000009160: D8EC4100 60000032
	ds_read_b64 v[98:99], v50 offset:16768                     // 000000009168: D8EC4180 62000032
	ds_read_b64 v[100:101], v50 offset:16896                   // 000000009170: D8EC4200 64000032
	ds_read_b64 v[102:103], v50 offset:17024                   // 000000009178: D8EC4280 66000032
	ds_read_b64 v[104:105], v50 offset:17152                   // 000000009180: D8EC4300 68000032
	ds_read_b64 v[106:107], v50 offset:17280                   // 000000009188: D8EC4380 6A000032
	ds_read_b64 v[108:109], v50 offset:17408                   // 000000009190: D8EC4400 6C000032
	ds_read_b64 v[110:111], v50 offset:17536                   // 000000009198: D8EC4480 6E000032
	ds_read_b64 v[112:113], v50 offset:17664                   // 0000000091A0: D8EC4500 70000032
	ds_read_b64 v[114:115], v50 offset:17792                   // 0000000091A8: D8EC4580 72000032
	ds_read_b64 v[116:117], v50 offset:17920                   // 0000000091B0: D8EC4600 74000032
	ds_read_b64 v[118:119], v50 offset:18048                   // 0000000091B8: D8EC4680 76000032
	ds_read_b64 v[120:121], v50 offset:18176                   // 0000000091C0: D8EC4700 78000032
	ds_read_b64 v[122:123], v50 offset:18304                   // 0000000091C8: D8EC4780 7A000032
	ds_read_b64 v[124:125], v50 offset:18432                   // 0000000091D0: D8EC4800 7C000032
	ds_read_b64 v[126:127], v50 offset:18560                   // 0000000091D8: D8EC4880 7E000032
	s_waitcnt lgkmcnt(0)                                       // 0000000091E0: BF8CC07F
	v_max3_f32 v22, |v96|, |v98|, v22                          // 0000000091E4: D1D30316 045AC560
	v_max3_f32 v23, |v97|, |v99|, v23                          // 0000000091EC: D1D30317 045EC761
	v_max3_f32 v22, |v100|, |v102|, v22                        // 0000000091F4: D1D30316 045ACD64
	v_max3_f32 v23, |v101|, |v103|, v23                        // 0000000091FC: D1D30317 045ECF65
	v_max3_f32 v22, |v104|, |v106|, v22                        // 000000009204: D1D30316 045AD568
	v_max3_f32 v23, |v105|, |v107|, v23                        // 00000000920C: D1D30317 045ED769
	v_max3_f32 v22, |v108|, |v110|, v22                        // 000000009214: D1D30316 045ADD6C
	v_max3_f32 v23, |v109|, |v111|, v23                        // 00000000921C: D1D30317 045EDF6D
	v_max3_f32 v22, |v112|, |v114|, v22                        // 000000009224: D1D30316 045AE570
	v_max3_f32 v23, |v113|, |v115|, v23                        // 00000000922C: D1D30317 045EE771
	v_max3_f32 v22, |v116|, |v118|, v22                        // 000000009234: D1D30316 045AED74
	v_max3_f32 v23, |v117|, |v119|, v23                        // 00000000923C: D1D30317 045EEF75
	v_max3_f32 v22, |v120|, |v122|, v22                        // 000000009244: D1D30316 045AF578
	v_max3_f32 v23, |v121|, |v123|, v23                        // 00000000924C: D1D30317 045EF779
	v_max3_f32 v22, |v124|, |v126|, v22                        // 000000009254: D1D30316 045AFD7C
	v_max3_f32 v23, |v125|, |v127|, v23                        // 00000000925C: D1D30317 045EFF7D
	v_rcp_f32_e32 v22, v22                                     // 000000009264: 7E2C4516
	v_rcp_f32_e32 v23, v23                                     // 000000009268: 7E2E4517
	v_mov_b32_e32 v50, 0x43700000                              // 00000000926C: 7E6402FF 43700000
	v_mul_f32_e32 v22, v50, v22                                // 000000009274: 0A2C2D32
	v_mul_f32_e32 v23, v50, v23                                // 000000009278: 0A2E2F32
	v_mul_f32_e32 v128, v22, v128                              // 00000000927C: 0B010116
	v_mul_f32_e32 v129, v22, v129                              // 000000009280: 0B030316
	v_mul_f32_e32 v130, v22, v130                              // 000000009284: 0B050516
	v_mul_f32_e32 v131, v22, v131                              // 000000009288: 0B070716
	v_cvt_pk_fp8_f32 v128, v128, v129                          // 00000000928C: D2A20080 00030380
	v_cvt_pk_fp8_f32 v128, v130, v131 op_sel:[0,0,1]           // 000000009294: D2A24080 00030782
	v_mul_f32_e32 v132, v23, v132                              // 00000000929C: 0B090917
	v_mul_f32_e32 v133, v23, v133                              // 0000000092A0: 0B0B0B17
	v_mul_f32_e32 v134, v23, v134                              // 0000000092A4: 0B0D0D17
	v_mul_f32_e32 v135, v23, v135                              // 0000000092A8: 0B0F0F17
	v_cvt_pk_fp8_f32 v129, v132, v133                          // 0000000092AC: D2A20081 00030B84
	v_cvt_pk_fp8_f32 v129, v134, v135 op_sel:[0,0,1]           // 0000000092B4: D2A24081 00030F86
	v_mul_f32_e32 v136, v22, v136                              // 0000000092BC: 0B111116
	v_mul_f32_e32 v137, v22, v137                              // 0000000092C0: 0B131316
	v_mul_f32_e32 v138, v22, v138                              // 0000000092C4: 0B151516
	v_mul_f32_e32 v139, v22, v139                              // 0000000092C8: 0B171716
	v_cvt_pk_fp8_f32 v130, v136, v137                          // 0000000092CC: D2A20082 00031388
	v_cvt_pk_fp8_f32 v130, v138, v139 op_sel:[0,0,1]           // 0000000092D4: D2A24082 0003178A
	v_mul_f32_e32 v140, v23, v140                              // 0000000092DC: 0B191917
	v_mul_f32_e32 v141, v23, v141                              // 0000000092E0: 0B1B1B17
	v_mul_f32_e32 v142, v23, v142                              // 0000000092E4: 0B1D1D17
	v_mul_f32_e32 v143, v23, v143                              // 0000000092E8: 0B1F1F17
	v_cvt_pk_fp8_f32 v131, v140, v141                          // 0000000092EC: D2A20083 00031B8C
	v_cvt_pk_fp8_f32 v131, v142, v143 op_sel:[0,0,1]           // 0000000092F4: D2A24083 00031F8E
	v_mul_f32_e32 v144, v22, v144                              // 0000000092FC: 0B212116
	v_mul_f32_e32 v145, v22, v145                              // 000000009300: 0B232316
	v_mul_f32_e32 v146, v22, v146                              // 000000009304: 0B252516
	v_mul_f32_e32 v147, v22, v147                              // 000000009308: 0B272716
	v_cvt_pk_fp8_f32 v132, v144, v145                          // 00000000930C: D2A20084 00032390
	v_cvt_pk_fp8_f32 v132, v146, v147 op_sel:[0,0,1]           // 000000009314: D2A24084 00032792
	v_mul_f32_e32 v148, v23, v148                              // 00000000931C: 0B292917
	v_mul_f32_e32 v149, v23, v149                              // 000000009320: 0B2B2B17
	v_mul_f32_e32 v150, v23, v150                              // 000000009324: 0B2D2D17
	v_mul_f32_e32 v151, v23, v151                              // 000000009328: 0B2F2F17
	v_cvt_pk_fp8_f32 v133, v148, v149                          // 00000000932C: D2A20085 00032B94
	v_cvt_pk_fp8_f32 v133, v150, v151 op_sel:[0,0,1]           // 000000009334: D2A24085 00032F96
	v_mul_f32_e32 v152, v22, v152                              // 00000000933C: 0B313116
	v_mul_f32_e32 v153, v22, v153                              // 000000009340: 0B333316
	v_mul_f32_e32 v154, v22, v154                              // 000000009344: 0B353516
	v_mul_f32_e32 v155, v22, v155                              // 000000009348: 0B373716
	v_cvt_pk_fp8_f32 v134, v152, v153                          // 00000000934C: D2A20086 00033398
	v_cvt_pk_fp8_f32 v134, v154, v155 op_sel:[0,0,1]           // 000000009354: D2A24086 0003379A
	v_mul_f32_e32 v156, v23, v156                              // 00000000935C: 0B393917
	v_mul_f32_e32 v157, v23, v157                              // 000000009360: 0B3B3B17
	v_mul_f32_e32 v158, v23, v158                              // 000000009364: 0B3D3D17
	v_mul_f32_e32 v159, v23, v159                              // 000000009368: 0B3F3F17
	v_cvt_pk_fp8_f32 v135, v156, v157                          // 00000000936C: D2A20087 00033B9C
	v_cvt_pk_fp8_f32 v135, v158, v159 op_sel:[0,0,1]           // 000000009374: D2A24087 00033F9E
	v_mul_f32_e32 v160, v22, v160                              // 00000000937C: 0B414116
	v_mul_f32_e32 v161, v22, v161                              // 000000009380: 0B434316
	v_mul_f32_e32 v162, v22, v162                              // 000000009384: 0B454516
	v_mul_f32_e32 v163, v22, v163                              // 000000009388: 0B474716
	v_cvt_pk_fp8_f32 v136, v160, v161                          // 00000000938C: D2A20088 000343A0
	v_cvt_pk_fp8_f32 v136, v162, v163 op_sel:[0,0,1]           // 000000009394: D2A24088 000347A2
	v_mul_f32_e32 v164, v23, v164                              // 00000000939C: 0B494917
	v_mul_f32_e32 v165, v23, v165                              // 0000000093A0: 0B4B4B17
	v_mul_f32_e32 v166, v23, v166                              // 0000000093A4: 0B4D4D17
	v_mul_f32_e32 v167, v23, v167                              // 0000000093A8: 0B4F4F17
	v_cvt_pk_fp8_f32 v137, v164, v165                          // 0000000093AC: D2A20089 00034BA4
	v_cvt_pk_fp8_f32 v137, v166, v167 op_sel:[0,0,1]           // 0000000093B4: D2A24089 00034FA6
	v_mul_f32_e32 v168, v22, v168                              // 0000000093BC: 0B515116
	v_mul_f32_e32 v169, v22, v169                              // 0000000093C0: 0B535316
	v_mul_f32_e32 v170, v22, v170                              // 0000000093C4: 0B555516
	v_mul_f32_e32 v171, v22, v171                              // 0000000093C8: 0B575716
	v_cvt_pk_fp8_f32 v138, v168, v169                          // 0000000093CC: D2A2008A 000353A8
	v_cvt_pk_fp8_f32 v138, v170, v171 op_sel:[0,0,1]           // 0000000093D4: D2A2408A 000357AA
	v_mul_f32_e32 v172, v23, v172                              // 0000000093DC: 0B595917
	v_mul_f32_e32 v173, v23, v173                              // 0000000093E0: 0B5B5B17
	v_mul_f32_e32 v174, v23, v174                              // 0000000093E4: 0B5D5D17
	v_mul_f32_e32 v175, v23, v175                              // 0000000093E8: 0B5F5F17
	v_cvt_pk_fp8_f32 v139, v172, v173                          // 0000000093EC: D2A2008B 00035BAC
	v_cvt_pk_fp8_f32 v139, v174, v175 op_sel:[0,0,1]           // 0000000093F4: D2A2408B 00035FAE
	v_rcp_f32_e32 v24, v22                                     // 0000000093FC: 7E304516
	v_rcp_f32_e32 v25, v23                                     // 000000009400: 7E324517
	v_lshrrev_b32_e32 v50, 5, v0                               // 000000009404: 20640085
	v_lshlrev_b32_e32 v51, 5, v50                              // 000000009408: 24666485
	v_and_b32_e32 v50, 31, v0                                  // 00000000940C: 2664009F
	v_lshrrev_b32_e32 v52, 4, v50                              // 000000009410: 20686484
	v_add_u32_e32 v51, v52, v51                                // 000000009414: 68666734
	v_and_b32_e32 v50, 15, v0                                  // 000000009418: 2664008F
	v_lshlrev_b32_e32 v50, 1, v50                              // 00000000941C: 24646481
	v_add_u32_e32 v51, v50, v51                                // 000000009420: 68666732
	v_lshlrev_b32_e32 v50, 2, v51                              // 000000009424: 24646682
	s_mul_i32 s60, 0x100, s7                                   // 000000009428: 923C07FF 00000100
	v_add_u32_e64 v50, v50, s60                                // 000000009430: D1340032 00007932
	ds_write_b32 v50, v128 offset:18688                        // 000000009438: D81A4900 00008032
	ds_write_b32 v50, v129 offset:24832                        // 000000009440: D81A6100 00008132
	ds_write_b32 v50, v130 offset:19712                        // 000000009448: D81A4D00 00008232
	ds_write_b32 v50, v131 offset:25856                        // 000000009450: D81A6500 00008332
	ds_write_b32 v50, v132 offset:20736                        // 000000009458: D81A5100 00008432
	ds_write_b32 v50, v133 offset:26880                        // 000000009460: D81A6900 00008532
	ds_write_b32 v50, v134 offset:21760                        // 000000009468: D81A5500 00008632
	ds_write_b32 v50, v135 offset:27904                        // 000000009470: D81A6D00 00008732
	ds_write_b32 v50, v136 offset:22784                        // 000000009478: D81A5900 00008832
	ds_write_b32 v50, v137 offset:28928                        // 000000009480: D81A7100 00008932
	ds_write_b32 v50, v138 offset:23808                        // 000000009488: D81A5D00 00008A32
	ds_write_b32 v50, v139 offset:29952                        // 000000009490: D81A7500 00008B32
	s_waitcnt lgkmcnt(0)                                       // 000000009498: BF8CC07F
	s_barrier                                                  // 00000000949C: BF8A0000
	v_lshrrev_b32_e32 v50, 4, v0                               // 0000000094A0: 20640084
	v_lshlrev_b32_e32 v51, 6, v50                              // 0000000094A4: 24666486
	v_and_b32_e32 v50, 15, v0                                  // 0000000094A8: 2664008F
	v_lshlrev_b32_e32 v50, 1, v50                              // 0000000094AC: 24646481
	v_add_u32_e32 v51, v50, v51                                // 0000000094B0: 68666732
	v_lshlrev_b32_e32 v50, 2, v51                              // 0000000094B4: 24646682
	ds_read_b64 v[128:129], v50 offset:18688                   // 0000000094B8: D8EC4900 80000032
	ds_read_b64 v[130:131], v50 offset:18816                   // 0000000094C0: D8EC4980 82000032
	ds_read_b64 v[132:133], v50 offset:19712                   // 0000000094C8: D8EC4D00 84000032
	ds_read_b64 v[134:135], v50 offset:19840                   // 0000000094D0: D8EC4D80 86000032
	ds_read_b64 v[136:137], v50 offset:20736                   // 0000000094D8: D8EC5100 88000032
	ds_read_b64 v[138:139], v50 offset:20864                   // 0000000094E0: D8EC5180 8A000032
	ds_read_b64 v[140:141], v50 offset:21760                   // 0000000094E8: D8EC5500 8C000032
	ds_read_b64 v[142:143], v50 offset:21888                   // 0000000094F0: D8EC5580 8E000032
	ds_read_b64 v[144:145], v50 offset:22784                   // 0000000094F8: D8EC5900 90000032
	ds_read_b64 v[146:147], v50 offset:22912                   // 000000009500: D8EC5980 92000032
	ds_read_b64 v[148:149], v50 offset:23808                   // 000000009508: D8EC5D00 94000032
	ds_read_b64 v[150:151], v50 offset:23936                   // 000000009510: D8EC5D80 96000032
	ds_read_b64 v[152:153], v50 offset:24832                   // 000000009518: D8EC6100 98000032
	ds_read_b64 v[154:155], v50 offset:24960                   // 000000009520: D8EC6180 9A000032
	ds_read_b64 v[156:157], v50 offset:25856                   // 000000009528: D8EC6500 9C000032
	ds_read_b64 v[158:159], v50 offset:25984                   // 000000009530: D8EC6580 9E000032
	ds_read_b64 v[160:161], v50 offset:26880                   // 000000009538: D8EC6900 A0000032
	ds_read_b64 v[162:163], v50 offset:27008                   // 000000009540: D8EC6980 A2000032
	ds_read_b64 v[164:165], v50 offset:27904                   // 000000009548: D8EC6D00 A4000032
	ds_read_b64 v[166:167], v50 offset:28032                   // 000000009550: D8EC6D80 A6000032
	ds_read_b64 v[168:169], v50 offset:28928                   // 000000009558: D8EC7100 A8000032
	ds_read_b64 v[170:171], v50 offset:29056                   // 000000009560: D8EC7180 AA000032
	ds_read_b64 v[172:173], v50 offset:29952                   // 000000009568: D8EC7500 AC000032
	ds_read_b64 v[174:175], v50 offset:30080                   // 000000009570: D8EC7580 AE000032
	s_add_u32 s12, s56, s12                                    // 000000009578: 800C0C38
	s_addc_u32 s13, 0, s13                                     // 00000000957C: 820D0D80
	s_add_u32 s16, s79, s16                                    // 000000009580: 8010104F
	s_addc_u32 s17, 0, s17                                     // 000000009584: 82111180
	s_mov_b32 s80, 0                                           // 000000009588: BED00080
	s_waitcnt vmcnt(0) expcnt(0) lgkmcnt(0)                    // 00000000958C: BF8C0000

0000000000009590 <label_1AA4>:
	s_waitcnt vmcnt(37)                                        // 000000009590: BF8C8F75
	s_barrier                                                  // 000000009594: BF8A0000
	v_mfma_f32_16x16x32_fp8_fp8 v[176:179], a[0:1], v[128:129], 0// 000000009598: D3F300B0 0A030100
	buffer_load_dwordx4 a[96:99], v40, s[12:15], 0 offen       // 0000000095A0: E05C1000 80836028
	v_mfma_f32_16x16x32_fp8_fp8 v[176:179], a[2:3], v[130:131], v[176:179]// 0000000095A8: D3F300B0 0EC30502
	v_mfma_f32_16x16x32_fp8_fp8 v[180:183], a[0:1], v[152:153], 0// 0000000095B0: D3F300B4 0A033100
	v_mfma_f32_16x16x32_fp8_fp8 v[180:183], a[2:3], v[154:155], v[180:183]// 0000000095B8: D3F300B4 0ED33502
	v_mfma_f32_16x16x32_fp8_fp8 v[184:187], a[4:5], v[128:129], 0// 0000000095C0: D3F300B8 0A030104
	buffer_load_dwordx4 a[100:103], v41, s[12:15], 0 offen     // 0000000095C8: E05C1000 80836429
	v_mfma_f32_16x16x32_fp8_fp8 v[184:187], a[6:7], v[130:131], v[184:187]// 0000000095D0: D3F300B8 0EE30506
	v_mfma_f32_16x16x32_fp8_fp8 v[188:191], a[4:5], v[152:153], 0// 0000000095D8: D3F300BC 0A033104
	v_mfma_f32_16x16x32_fp8_fp8 v[188:191], a[6:7], v[154:155], v[188:191]// 0000000095E0: D3F300BC 0EF33506
	v_mfma_f32_16x16x32_fp8_fp8 v[192:195], a[8:9], v[128:129], 0// 0000000095E8: D3F300C0 0A030108
	buffer_load_dwordx4 a[104:107], v42, s[12:15], 0 offen     // 0000000095F0: E05C1000 8083682A
	v_mfma_f32_16x16x32_fp8_fp8 v[192:195], a[10:11], v[130:131], v[192:195]// 0000000095F8: D3F300C0 0F03050A
	v_mfma_f32_16x16x32_fp8_fp8 v[196:199], a[8:9], v[152:153], 0// 000000009600: D3F300C4 0A033108
	v_mfma_f32_16x16x32_fp8_fp8 v[196:199], a[10:11], v[154:155], v[196:199]// 000000009608: D3F300C4 0F13350A
	v_mfma_f32_16x16x32_fp8_fp8 v[200:203], a[12:13], v[128:129], 0// 000000009610: D3F300C8 0A03010C
	buffer_load_dwordx4 a[108:111], v43, s[12:15], 0 offen     // 000000009618: E05C1000 80836C2B
	s_add_u32 s12, s78, s12                                    // 000000009620: 800C0C4E
	s_addc_u32 s13, 0, s13                                     // 000000009624: 820D0D80
	v_mfma_f32_16x16x32_fp8_fp8 v[200:203], a[14:15], v[130:131], v[200:203]// 000000009628: D3F300C8 0F23050E
	v_mfma_f32_16x16x32_fp8_fp8 v[204:207], a[12:13], v[152:153], 0// 000000009630: D3F300CC 0A03310C
	v_mfma_f32_16x16x32_fp8_fp8 v[204:207], a[14:15], v[154:155], v[204:207]// 000000009638: D3F300CC 0F33350E
	s_waitcnt vmcnt(37)                                        // 000000009640: BF8C8F75
	v_mfma_f32_16x16x32_fp8_fp8 v[176:179], a[16:17], v[132:133], v[176:179]// 000000009644: D3F300B0 0EC30910
	buffer_load_dwordx4 a[112:115], v40, s[12:15], 0 offen     // 00000000964C: E05C1000 80837028
	v_mfma_f32_16x16x32_fp8_fp8 v[176:179], a[18:19], v[134:135], v[176:179]// 000000009654: D3F300B0 0EC30D12
	v_mfma_f32_16x16x32_fp8_fp8 v[180:183], a[16:17], v[156:157], v[180:183]// 00000000965C: D3F300B4 0ED33910
	v_mfma_f32_16x16x32_fp8_fp8 v[180:183], a[18:19], v[158:159], v[180:183]// 000000009664: D3F300B4 0ED33D12
	v_mfma_f32_16x16x32_fp8_fp8 v[184:187], a[20:21], v[132:133], v[184:187]// 00000000966C: D3F300B8 0EE30914
	buffer_load_dwordx4 a[116:119], v41, s[12:15], 0 offen     // 000000009674: E05C1000 80837429
	v_mfma_f32_16x16x32_fp8_fp8 v[184:187], a[22:23], v[134:135], v[184:187]// 00000000967C: D3F300B8 0EE30D16
	v_mfma_f32_16x16x32_fp8_fp8 v[188:191], a[20:21], v[156:157], v[188:191]// 000000009684: D3F300BC 0EF33914
	v_mfma_f32_16x16x32_fp8_fp8 v[188:191], a[22:23], v[158:159], v[188:191]// 00000000968C: D3F300BC 0EF33D16
	v_mfma_f32_16x16x32_fp8_fp8 v[192:195], a[24:25], v[132:133], v[192:195]// 000000009694: D3F300C0 0F030918
	buffer_load_dwordx4 a[120:123], v42, s[12:15], 0 offen     // 00000000969C: E05C1000 8083782A
	v_mfma_f32_16x16x32_fp8_fp8 v[192:195], a[26:27], v[134:135], v[192:195]// 0000000096A4: D3F300C0 0F030D1A
	v_mfma_f32_16x16x32_fp8_fp8 v[196:199], a[24:25], v[156:157], v[196:199]// 0000000096AC: D3F300C4 0F133918
	v_mfma_f32_16x16x32_fp8_fp8 v[196:199], a[26:27], v[158:159], v[196:199]// 0000000096B4: D3F300C4 0F133D1A
	v_mfma_f32_16x16x32_fp8_fp8 v[200:203], a[28:29], v[132:133], v[200:203]// 0000000096BC: D3F300C8 0F23091C
	buffer_load_dwordx4 a[124:127], v43, s[12:15], 0 offen     // 0000000096C4: E05C1000 80837C2B
	s_add_u32 s12, s78, s12                                    // 0000000096CC: 800C0C4E
	s_addc_u32 s13, 0, s13                                     // 0000000096D0: 820D0D80
	v_mfma_f32_16x16x32_fp8_fp8 v[200:203], a[30:31], v[134:135], v[200:203]// 0000000096D4: D3F300C8 0F230D1E
	v_mfma_f32_16x16x32_fp8_fp8 v[204:207], a[28:29], v[156:157], v[204:207]// 0000000096DC: D3F300CC 0F33391C
	v_mfma_f32_16x16x32_fp8_fp8 v[204:207], a[30:31], v[158:159], v[204:207]// 0000000096E4: D3F300CC 0F333D1E
	s_waitcnt vmcnt(37)                                        // 0000000096EC: BF8C8F75
	v_mfma_f32_16x16x32_fp8_fp8 v[176:179], a[32:33], v[136:137], v[176:179]// 0000000096F0: D3F300B0 0EC31120
	buffer_load_dwordx4 a[128:131], v40, s[12:15], 0 offen     // 0000000096F8: E05C1000 80838028
	v_mfma_f32_16x16x32_fp8_fp8 v[176:179], a[34:35], v[138:139], v[176:179]// 000000009700: D3F300B0 0EC31522
	v_mfma_f32_16x16x32_fp8_fp8 v[180:183], a[32:33], v[160:161], v[180:183]// 000000009708: D3F300B4 0ED34120
	v_mfma_f32_16x16x32_fp8_fp8 v[180:183], a[34:35], v[162:163], v[180:183]// 000000009710: D3F300B4 0ED34522
	v_mfma_f32_16x16x32_fp8_fp8 v[184:187], a[36:37], v[136:137], v[184:187]// 000000009718: D3F300B8 0EE31124
	buffer_load_dwordx4 a[132:135], v41, s[12:15], 0 offen     // 000000009720: E05C1000 80838429
	v_mfma_f32_16x16x32_fp8_fp8 v[184:187], a[38:39], v[138:139], v[184:187]// 000000009728: D3F300B8 0EE31526
	v_mfma_f32_16x16x32_fp8_fp8 v[188:191], a[36:37], v[160:161], v[188:191]// 000000009730: D3F300BC 0EF34124
	v_mfma_f32_16x16x32_fp8_fp8 v[188:191], a[38:39], v[162:163], v[188:191]// 000000009738: D3F300BC 0EF34526
	v_mfma_f32_16x16x32_fp8_fp8 v[192:195], a[40:41], v[136:137], v[192:195]// 000000009740: D3F300C0 0F031128
	buffer_load_dwordx4 a[136:139], v42, s[12:15], 0 offen     // 000000009748: E05C1000 8083882A
	v_mfma_f32_16x16x32_fp8_fp8 v[192:195], a[42:43], v[138:139], v[192:195]// 000000009750: D3F300C0 0F03152A
	v_mfma_f32_16x16x32_fp8_fp8 v[196:199], a[40:41], v[160:161], v[196:199]// 000000009758: D3F300C4 0F134128
	v_mfma_f32_16x16x32_fp8_fp8 v[196:199], a[42:43], v[162:163], v[196:199]// 000000009760: D3F300C4 0F13452A
	v_mfma_f32_16x16x32_fp8_fp8 v[200:203], a[44:45], v[136:137], v[200:203]// 000000009768: D3F300C8 0F23112C
	buffer_load_dwordx4 a[140:143], v43, s[12:15], 0 offen     // 000000009770: E05C1000 80838C2B
	s_add_u32 s12, s78, s12                                    // 000000009778: 800C0C4E
	s_addc_u32 s13, 0, s13                                     // 00000000977C: 820D0D80
	v_mfma_f32_16x16x32_fp8_fp8 v[200:203], a[46:47], v[138:139], v[200:203]// 000000009780: D3F300C8 0F23152E
	v_mfma_f32_16x16x32_fp8_fp8 v[204:207], a[44:45], v[160:161], v[204:207]// 000000009788: D3F300CC 0F33412C
	v_mfma_f32_16x16x32_fp8_fp8 v[204:207], a[46:47], v[162:163], v[204:207]// 000000009790: D3F300CC 0F33452E
	s_waitcnt vmcnt(37)                                        // 000000009798: BF8C8F75
	v_mfma_f32_16x16x32_fp8_fp8 v[176:179], a[48:49], v[140:141], v[176:179]// 00000000979C: D3F300B0 0EC31930
	buffer_load_dwordx4 a[144:147], v40, s[12:15], 0 offen     // 0000000097A4: E05C1000 80839028
	v_mfma_f32_16x16x32_fp8_fp8 v[176:179], a[50:51], v[142:143], v[176:179]// 0000000097AC: D3F300B0 0EC31D32
	v_mfma_f32_16x16x32_fp8_fp8 v[180:183], a[48:49], v[164:165], v[180:183]// 0000000097B4: D3F300B4 0ED34930
	v_mfma_f32_16x16x32_fp8_fp8 v[180:183], a[50:51], v[166:167], v[180:183]// 0000000097BC: D3F300B4 0ED34D32
	v_mfma_f32_16x16x32_fp8_fp8 v[184:187], a[52:53], v[140:141], v[184:187]// 0000000097C4: D3F300B8 0EE31934
	buffer_load_dwordx4 a[148:151], v41, s[12:15], 0 offen     // 0000000097CC: E05C1000 80839429
	v_mfma_f32_16x16x32_fp8_fp8 v[184:187], a[54:55], v[142:143], v[184:187]// 0000000097D4: D3F300B8 0EE31D36
	v_mfma_f32_16x16x32_fp8_fp8 v[188:191], a[52:53], v[164:165], v[188:191]// 0000000097DC: D3F300BC 0EF34934
	v_mfma_f32_16x16x32_fp8_fp8 v[188:191], a[54:55], v[166:167], v[188:191]// 0000000097E4: D3F300BC 0EF34D36
	v_mfma_f32_16x16x32_fp8_fp8 v[192:195], a[56:57], v[140:141], v[192:195]// 0000000097EC: D3F300C0 0F031938
	buffer_load_dwordx4 a[152:155], v42, s[12:15], 0 offen     // 0000000097F4: E05C1000 8083982A
	v_mfma_f32_16x16x32_fp8_fp8 v[192:195], a[58:59], v[142:143], v[192:195]// 0000000097FC: D3F300C0 0F031D3A
	v_mfma_f32_16x16x32_fp8_fp8 v[196:199], a[56:57], v[164:165], v[196:199]// 000000009804: D3F300C4 0F134938
	v_mfma_f32_16x16x32_fp8_fp8 v[196:199], a[58:59], v[166:167], v[196:199]// 00000000980C: D3F300C4 0F134D3A
	v_mfma_f32_16x16x32_fp8_fp8 v[200:203], a[60:61], v[140:141], v[200:203]// 000000009814: D3F300C8 0F23193C
	buffer_load_dwordx4 a[156:159], v43, s[12:15], 0 offen     // 00000000981C: E05C1000 80839C2B
	s_add_u32 s12, s78, s12                                    // 000000009824: 800C0C4E
	s_addc_u32 s13, 0, s13                                     // 000000009828: 820D0D80
	v_mfma_f32_16x16x32_fp8_fp8 v[200:203], a[62:63], v[142:143], v[200:203]// 00000000982C: D3F300C8 0F231D3E
	v_mfma_f32_16x16x32_fp8_fp8 v[204:207], a[60:61], v[164:165], v[204:207]// 000000009834: D3F300CC 0F33493C
	v_mfma_f32_16x16x32_fp8_fp8 v[204:207], a[62:63], v[166:167], v[204:207]// 00000000983C: D3F300CC 0F334D3E
	s_waitcnt vmcnt(37)                                        // 000000009844: BF8C8F75
	v_mfma_f32_16x16x32_fp8_fp8 v[176:179], a[64:65], v[144:145], v[176:179]// 000000009848: D3F300B0 0EC32140
	buffer_load_dwordx4 a[160:163], v40, s[12:15], 0 offen     // 000000009850: E05C1000 8083A028
	v_mfma_f32_16x16x32_fp8_fp8 v[176:179], a[66:67], v[146:147], v[176:179]// 000000009858: D3F300B0 0EC32542
	v_mfma_f32_16x16x32_fp8_fp8 v[180:183], a[64:65], v[168:169], v[180:183]// 000000009860: D3F300B4 0ED35140
	v_mfma_f32_16x16x32_fp8_fp8 v[180:183], a[66:67], v[170:171], v[180:183]// 000000009868: D3F300B4 0ED35542
	v_mfma_f32_16x16x32_fp8_fp8 v[184:187], a[68:69], v[144:145], v[184:187]// 000000009870: D3F300B8 0EE32144
	buffer_load_dwordx4 a[164:167], v41, s[12:15], 0 offen     // 000000009878: E05C1000 8083A429
	v_mfma_f32_16x16x32_fp8_fp8 v[184:187], a[70:71], v[146:147], v[184:187]// 000000009880: D3F300B8 0EE32546
	v_mfma_f32_16x16x32_fp8_fp8 v[188:191], a[68:69], v[168:169], v[188:191]// 000000009888: D3F300BC 0EF35144
	v_mfma_f32_16x16x32_fp8_fp8 v[188:191], a[70:71], v[170:171], v[188:191]// 000000009890: D3F300BC 0EF35546
	v_mfma_f32_16x16x32_fp8_fp8 v[192:195], a[72:73], v[144:145], v[192:195]// 000000009898: D3F300C0 0F032148
	buffer_load_dwordx4 a[168:171], v42, s[12:15], 0 offen     // 0000000098A0: E05C1000 8083A82A
	v_mfma_f32_16x16x32_fp8_fp8 v[192:195], a[74:75], v[146:147], v[192:195]// 0000000098A8: D3F300C0 0F03254A
	v_mfma_f32_16x16x32_fp8_fp8 v[196:199], a[72:73], v[168:169], v[196:199]// 0000000098B0: D3F300C4 0F135148
	v_mfma_f32_16x16x32_fp8_fp8 v[196:199], a[74:75], v[170:171], v[196:199]// 0000000098B8: D3F300C4 0F13554A
	v_mfma_f32_16x16x32_fp8_fp8 v[200:203], a[76:77], v[144:145], v[200:203]// 0000000098C0: D3F300C8 0F23214C
	buffer_load_dwordx4 a[172:175], v43, s[12:15], 0 offen     // 0000000098C8: E05C1000 8083AC2B
	s_add_u32 s12, s78, s12                                    // 0000000098D0: 800C0C4E
	s_addc_u32 s13, 0, s13                                     // 0000000098D4: 820D0D80
	v_mfma_f32_16x16x32_fp8_fp8 v[200:203], a[78:79], v[146:147], v[200:203]// 0000000098D8: D3F300C8 0F23254E
	v_mfma_f32_16x16x32_fp8_fp8 v[204:207], a[76:77], v[168:169], v[204:207]// 0000000098E0: D3F300CC 0F33514C
	v_mfma_f32_16x16x32_fp8_fp8 v[204:207], a[78:79], v[170:171], v[204:207]// 0000000098E8: D3F300CC 0F33554E
	s_waitcnt vmcnt(36)                                        // 0000000098F0: BF8C8F74
	v_mfma_f32_16x16x32_fp8_fp8 v[176:179], a[80:81], v[148:149], v[176:179]// 0000000098F4: D3F300B0 0EC32950
	buffer_load_dwordx4 a[176:179], v40, s[12:15], 0 offen     // 0000000098FC: E05C1000 8083B028
	v_mfma_f32_16x16x32_fp8_fp8 v[176:179], a[82:83], v[150:151], v[176:179]// 000000009904: D3F300B0 0EC32D52
	v_mfma_f32_16x16x32_fp8_fp8 v[180:183], a[80:81], v[172:173], v[180:183]// 00000000990C: D3F300B4 0ED35950
	buffer_load_dword v13, v5, s[16:19], 0 offen               // 000000009914: E0501000 80040D05
	v_mfma_f32_16x16x32_fp8_fp8 v[180:183], a[82:83], v[174:175], v[180:183]// 00000000991C: D3F300B4 0ED35D52
	v_mfma_f32_16x16x32_fp8_fp8 v[184:187], a[84:85], v[148:149], v[184:187]// 000000009924: D3F300B8 0EE32954
	buffer_load_dwordx4 a[180:183], v41, s[12:15], 0 offen     // 00000000992C: E05C1000 8083B429
	v_mfma_f32_16x16x32_fp8_fp8 v[184:187], a[86:87], v[150:151], v[184:187]// 000000009934: D3F300B8 0EE32D56
	v_mfma_f32_16x16x32_fp8_fp8 v[188:191], a[84:85], v[172:173], v[188:191]// 00000000993C: D3F300BC 0EF35954
	v_mfma_f32_16x16x32_fp8_fp8 v[188:191], a[86:87], v[174:175], v[188:191]// 000000009944: D3F300BC 0EF35D56
	v_mfma_f32_16x16x32_fp8_fp8 v[192:195], a[88:89], v[148:149], v[192:195]// 00000000994C: D3F300C0 0F032958
	buffer_load_dwordx4 a[184:187], v42, s[12:15], 0 offen     // 000000009954: E05C1000 8083B82A
	v_mfma_f32_16x16x32_fp8_fp8 v[192:195], a[90:91], v[150:151], v[192:195]// 00000000995C: D3F300C0 0F032D5A
	v_mfma_f32_16x16x32_fp8_fp8 v[196:199], a[88:89], v[172:173], v[196:199]// 000000009964: D3F300C4 0F135958
	v_mfma_f32_16x16x32_fp8_fp8 v[196:199], a[90:91], v[174:175], v[196:199]// 00000000996C: D3F300C4 0F135D5A
	v_mfma_f32_16x16x32_fp8_fp8 v[200:203], a[92:93], v[148:149], v[200:203]// 000000009974: D3F300C8 0F23295C
	buffer_load_dwordx4 a[188:191], v43, s[12:15], 0 offen     // 00000000997C: E05C1000 8083BC2B
	v_mfma_f32_16x16x32_fp8_fp8 v[200:203], a[94:95], v[150:151], v[200:203]// 000000009984: D3F300C8 0F232D5E
	v_mfma_f32_16x16x32_fp8_fp8 v[204:207], a[92:93], v[172:173], v[204:207]// 00000000998C: D3F300CC 0F33595C
	v_mfma_f32_16x16x32_fp8_fp8 v[204:207], a[94:95], v[174:175], v[204:207]// 000000009994: D3F300CC 0F335D5E
	s_add_u32 s60, 0x200, s80                                  // 00000000999C: 803C50FF 00000200
	s_cmp_lt_u32 s60, s81                                      // 0000000099A4: BF0A513C
	s_cselect_b32 s56, s56, 0                                  // 0000000099A8: 85388038
	s_cselect_b32 s78, s78, 0                                  // 0000000099AC: 854E804E
	s_cselect_b32 s79, s79, 0                                  // 0000000099B0: 854F804F
	s_add_u32 s12, s56, s12                                    // 0000000099B4: 800C0C38
	s_addc_u32 s13, 0, s13                                     // 0000000099B8: 820D0D80
	s_add_u32 s16, s79, s16                                    // 0000000099BC: 8010104F
	s_addc_u32 s17, 0, s17                                     // 0000000099C0: 82111180
	v_mul_f32_e32 v176, v24, v176                              // 0000000099C4: 0B616118
	v_mul_f32_e32 v177, v24, v177                              // 0000000099C8: 0B636318
	v_mul_f32_e32 v178, v24, v178                              // 0000000099CC: 0B656518
	v_mul_f32_e32 v179, v24, v179                              // 0000000099D0: 0B676718
	v_mul_f32_dpp v176, v12, v176 row_newbcast:0 row_mask:0xf bank_mask:0xf// 0000000099D4: 0B6160FA FF01500C
	v_mul_f32_dpp v177, v12, v177 row_newbcast:1 row_mask:0xf bank_mask:0xf// 0000000099DC: 0B6362FA FF01510C
	v_mul_f32_dpp v178, v12, v178 row_newbcast:2 row_mask:0xf bank_mask:0xf// 0000000099E4: 0B6564FA FF01520C
	v_mul_f32_dpp v179, v12, v179 row_newbcast:3 row_mask:0xf bank_mask:0xf// 0000000099EC: 0B6766FA FF01530C
	v_mul_f32_e32 v176, v20, v176                              // 0000000099F4: 0B616114
	v_mul_f32_e32 v177, v20, v177                              // 0000000099F8: 0B636314
	v_mul_f32_e32 v178, v20, v178                              // 0000000099FC: 0B656514
	v_mul_f32_e32 v179, v20, v179                              // 000000009A00: 0B676714
	v_mul_f32_e32 v180, v25, v180                              // 000000009A04: 0B696919
	v_mul_f32_e32 v181, v25, v181                              // 000000009A08: 0B6B6B19
	v_mul_f32_e32 v182, v25, v182                              // 000000009A0C: 0B6D6D19
	v_mul_f32_e32 v183, v25, v183                              // 000000009A10: 0B6F6F19
	v_mul_f32_dpp v180, v12, v180 row_newbcast:0 row_mask:0xf bank_mask:0xf// 000000009A14: 0B6968FA FF01500C
	v_mul_f32_dpp v181, v12, v181 row_newbcast:1 row_mask:0xf bank_mask:0xf// 000000009A1C: 0B6B6AFA FF01510C
	v_mul_f32_dpp v182, v12, v182 row_newbcast:2 row_mask:0xf bank_mask:0xf// 000000009A24: 0B6D6CFA FF01520C
	v_mul_f32_dpp v183, v12, v183 row_newbcast:3 row_mask:0xf bank_mask:0xf// 000000009A2C: 0B6F6EFA FF01530C
	v_mul_f32_e32 v180, v21, v180                              // 000000009A34: 0B696915
	v_mul_f32_e32 v181, v21, v181                              // 000000009A38: 0B6B6B15
	v_mul_f32_e32 v182, v21, v182                              // 000000009A3C: 0B6D6D15
	v_mul_f32_e32 v183, v21, v183                              // 000000009A40: 0B6F6F15
	v_mul_f32_e32 v184, v24, v184                              // 000000009A44: 0B717118
	v_mul_f32_e32 v185, v24, v185                              // 000000009A48: 0B737318
	v_mul_f32_e32 v186, v24, v186                              // 000000009A4C: 0B757518
	v_mul_f32_e32 v187, v24, v187                              // 000000009A50: 0B777718
	v_mul_f32_dpp v184, v12, v184 row_newbcast:4 row_mask:0xf bank_mask:0xf// 000000009A54: 0B7170FA FF01540C
	v_mul_f32_dpp v185, v12, v185 row_newbcast:5 row_mask:0xf bank_mask:0xf// 000000009A5C: 0B7372FA FF01550C
	v_mul_f32_dpp v186, v12, v186 row_newbcast:6 row_mask:0xf bank_mask:0xf// 000000009A64: 0B7574FA FF01560C
	v_mul_f32_dpp v187, v12, v187 row_newbcast:7 row_mask:0xf bank_mask:0xf// 000000009A6C: 0B7776FA FF01570C
	v_mul_f32_e32 v184, v20, v184                              // 000000009A74: 0B717114
	v_mul_f32_e32 v185, v20, v185                              // 000000009A78: 0B737314
	v_mul_f32_e32 v186, v20, v186                              // 000000009A7C: 0B757514
	v_mul_f32_e32 v187, v20, v187                              // 000000009A80: 0B777714
	v_mul_f32_e32 v188, v25, v188                              // 000000009A84: 0B797919
	v_mul_f32_e32 v189, v25, v189                              // 000000009A88: 0B7B7B19
	v_mul_f32_e32 v190, v25, v190                              // 000000009A8C: 0B7D7D19
	v_mul_f32_e32 v191, v25, v191                              // 000000009A90: 0B7F7F19
	v_mul_f32_dpp v188, v12, v188 row_newbcast:4 row_mask:0xf bank_mask:0xf// 000000009A94: 0B7978FA FF01540C
	v_mul_f32_dpp v189, v12, v189 row_newbcast:5 row_mask:0xf bank_mask:0xf// 000000009A9C: 0B7B7AFA FF01550C
	v_mul_f32_dpp v190, v12, v190 row_newbcast:6 row_mask:0xf bank_mask:0xf// 000000009AA4: 0B7D7CFA FF01560C
	v_mul_f32_dpp v191, v12, v191 row_newbcast:7 row_mask:0xf bank_mask:0xf// 000000009AAC: 0B7F7EFA FF01570C
	v_mul_f32_e32 v188, v21, v188                              // 000000009AB4: 0B797915
	v_mul_f32_e32 v189, v21, v189                              // 000000009AB8: 0B7B7B15
	v_mul_f32_e32 v190, v21, v190                              // 000000009ABC: 0B7D7D15
	v_mul_f32_e32 v191, v21, v191                              // 000000009AC0: 0B7F7F15
	v_mul_f32_e32 v192, v24, v192                              // 000000009AC4: 0B818118
	v_mul_f32_e32 v193, v24, v193                              // 000000009AC8: 0B838318
	v_mul_f32_e32 v194, v24, v194                              // 000000009ACC: 0B858518
	v_mul_f32_e32 v195, v24, v195                              // 000000009AD0: 0B878718
	v_mul_f32_dpp v192, v12, v192 row_newbcast:8 row_mask:0xf bank_mask:0xf// 000000009AD4: 0B8180FA FF01580C
	v_mul_f32_dpp v193, v12, v193 row_newbcast:9 row_mask:0xf bank_mask:0xf// 000000009ADC: 0B8382FA FF01590C
	v_mul_f32_dpp v194, v12, v194 row_newbcast:10 row_mask:0xf bank_mask:0xf// 000000009AE4: 0B8584FA FF015A0C
	v_mul_f32_dpp v195, v12, v195 row_newbcast:11 row_mask:0xf bank_mask:0xf// 000000009AEC: 0B8786FA FF015B0C
	v_mul_f32_e32 v192, v20, v192                              // 000000009AF4: 0B818114
	v_mul_f32_e32 v193, v20, v193                              // 000000009AF8: 0B838314
	v_mul_f32_e32 v194, v20, v194                              // 000000009AFC: 0B858514
	v_mul_f32_e32 v195, v20, v195                              // 000000009B00: 0B878714
	v_mul_f32_e32 v196, v25, v196                              // 000000009B04: 0B898919
	v_mul_f32_e32 v197, v25, v197                              // 000000009B08: 0B8B8B19
	v_mul_f32_e32 v198, v25, v198                              // 000000009B0C: 0B8D8D19
	v_mul_f32_e32 v199, v25, v199                              // 000000009B10: 0B8F8F19
	v_mul_f32_dpp v196, v12, v196 row_newbcast:8 row_mask:0xf bank_mask:0xf// 000000009B14: 0B8988FA FF01580C
	v_mul_f32_dpp v197, v12, v197 row_newbcast:9 row_mask:0xf bank_mask:0xf// 000000009B1C: 0B8B8AFA FF01590C
	v_mul_f32_dpp v198, v12, v198 row_newbcast:10 row_mask:0xf bank_mask:0xf// 000000009B24: 0B8D8CFA FF015A0C
	v_mul_f32_dpp v199, v12, v199 row_newbcast:11 row_mask:0xf bank_mask:0xf// 000000009B2C: 0B8F8EFA FF015B0C
	v_mul_f32_e32 v196, v21, v196                              // 000000009B34: 0B898915
	v_mul_f32_e32 v197, v21, v197                              // 000000009B38: 0B8B8B15
	v_mul_f32_e32 v198, v21, v198                              // 000000009B3C: 0B8D8D15
	v_mul_f32_e32 v199, v21, v199                              // 000000009B40: 0B8F8F15
	v_mul_f32_e32 v200, v24, v200                              // 000000009B44: 0B919118
	v_mul_f32_e32 v201, v24, v201                              // 000000009B48: 0B939318
	v_mul_f32_e32 v202, v24, v202                              // 000000009B4C: 0B959518
	v_mul_f32_e32 v203, v24, v203                              // 000000009B50: 0B979718
	v_mul_f32_dpp v200, v12, v200 row_newbcast:12 row_mask:0xf bank_mask:0xf// 000000009B54: 0B9190FA FF015C0C
	v_mul_f32_dpp v201, v12, v201 row_newbcast:13 row_mask:0xf bank_mask:0xf// 000000009B5C: 0B9392FA FF015D0C
	v_mul_f32_dpp v202, v12, v202 row_newbcast:14 row_mask:0xf bank_mask:0xf// 000000009B64: 0B9594FA FF015E0C
	v_mul_f32_dpp v203, v12, v203 row_newbcast:15 row_mask:0xf bank_mask:0xf// 000000009B6C: 0B9796FA FF015F0C
	v_mul_f32_e32 v200, v20, v200                              // 000000009B74: 0B919114
	v_mul_f32_e32 v201, v20, v201                              // 000000009B78: 0B939314
	v_mul_f32_e32 v202, v20, v202                              // 000000009B7C: 0B959514
	v_mul_f32_e32 v203, v20, v203                              // 000000009B80: 0B979714
	v_mul_f32_e32 v204, v25, v204                              // 000000009B84: 0B999919
	v_mul_f32_e32 v205, v25, v205                              // 000000009B88: 0B9B9B19
	v_mul_f32_e32 v206, v25, v206                              // 000000009B8C: 0B9D9D19
	v_mul_f32_e32 v207, v25, v207                              // 000000009B90: 0B9F9F19
	v_mul_f32_dpp v204, v12, v204 row_newbcast:12 row_mask:0xf bank_mask:0xf// 000000009B94: 0B9998FA FF015C0C
	v_mul_f32_dpp v205, v12, v205 row_newbcast:13 row_mask:0xf bank_mask:0xf// 000000009B9C: 0B9B9AFA FF015D0C
	v_mul_f32_dpp v206, v12, v206 row_newbcast:14 row_mask:0xf bank_mask:0xf// 000000009BA4: 0B9D9CFA FF015E0C
	v_mul_f32_dpp v207, v12, v207 row_newbcast:15 row_mask:0xf bank_mask:0xf// 000000009BAC: 0B9F9EFA FF015F0C
	v_mul_f32_e32 v204, v21, v204                              // 000000009BB4: 0B999915
	v_mul_f32_e32 v205, v21, v205                              // 000000009BB8: 0B9B9B15
	v_mul_f32_e32 v206, v21, v206                              // 000000009BBC: 0B9D9D15
	v_mul_f32_e32 v207, v21, v207                              // 000000009BC0: 0B9F9F15
	v_cmp_u_f32_e64 s[48:49], v176, v176                       // 000000009BC4: D0480030 000361B0
	v_add3_u32 v44, v176, v47, 1                               // 000000009BCC: D1FF002C 02065FB0
	v_cndmask_b32_e64 v50, v44, v46, s[48:49]                  // 000000009BD4: D1000032 00C25D2C
	v_cmp_u_f32_e64 s[48:49], v177, v177                       // 000000009BDC: D0480030 000363B1
	v_add3_u32 v44, v177, v47, 1                               // 000000009BE4: D1FF002C 02065FB1
	v_cndmask_b32_e64 v51, v44, v46, s[48:49]                  // 000000009BEC: D1000033 00C25D2C
	v_perm_b32 v176, v51, v50, s52                             // 000000009BF4: D1ED00B0 00D26533
	v_cmp_u_f32_e64 s[48:49], v178, v178                       // 000000009BFC: D0480030 000365B2
	v_add3_u32 v44, v178, v47, 1                               // 000000009C04: D1FF002C 02065FB2
	v_cndmask_b32_e64 v50, v44, v46, s[48:49]                  // 000000009C0C: D1000032 00C25D2C
	v_cmp_u_f32_e64 s[48:49], v179, v179                       // 000000009C14: D0480030 000367B3
	v_add3_u32 v44, v179, v47, 1                               // 000000009C1C: D1FF002C 02065FB3
	v_cndmask_b32_e64 v51, v44, v46, s[48:49]                  // 000000009C24: D1000033 00C25D2C
	v_perm_b32 v177, v51, v50, s52                             // 000000009C2C: D1ED00B1 00D26533
	v_cmp_u_f32_e64 s[48:49], v180, v180                       // 000000009C34: D0480030 000369B4
	v_add3_u32 v44, v180, v47, 1                               // 000000009C3C: D1FF002C 02065FB4
	v_cndmask_b32_e64 v50, v44, v46, s[48:49]                  // 000000009C44: D1000032 00C25D2C
	v_cmp_u_f32_e64 s[48:49], v181, v181                       // 000000009C4C: D0480030 00036BB5
	v_add3_u32 v44, v181, v47, 1                               // 000000009C54: D1FF002C 02065FB5
	v_cndmask_b32_e64 v51, v44, v46, s[48:49]                  // 000000009C5C: D1000033 00C25D2C
	v_perm_b32 v178, v51, v50, s52                             // 000000009C64: D1ED00B2 00D26533
	v_cmp_u_f32_e64 s[48:49], v182, v182                       // 000000009C6C: D0480030 00036DB6
	v_add3_u32 v44, v182, v47, 1                               // 000000009C74: D1FF002C 02065FB6
	v_cndmask_b32_e64 v50, v44, v46, s[48:49]                  // 000000009C7C: D1000032 00C25D2C
	v_cmp_u_f32_e64 s[48:49], v183, v183                       // 000000009C84: D0480030 00036FB7
	v_add3_u32 v44, v183, v47, 1                               // 000000009C8C: D1FF002C 02065FB7
	v_cndmask_b32_e64 v51, v44, v46, s[48:49]                  // 000000009C94: D1000033 00C25D2C
	v_perm_b32 v179, v51, v50, s52                             // 000000009C9C: D1ED00B3 00D26533
	v_cmp_u_f32_e64 s[48:49], v184, v184                       // 000000009CA4: D0480030 000371B8
	v_add3_u32 v44, v184, v47, 1                               // 000000009CAC: D1FF002C 02065FB8
	v_cndmask_b32_e64 v50, v44, v46, s[48:49]                  // 000000009CB4: D1000032 00C25D2C
	v_cmp_u_f32_e64 s[48:49], v185, v185                       // 000000009CBC: D0480030 000373B9
	v_add3_u32 v44, v185, v47, 1                               // 000000009CC4: D1FF002C 02065FB9
	v_cndmask_b32_e64 v51, v44, v46, s[48:49]                  // 000000009CCC: D1000033 00C25D2C
	v_perm_b32 v180, v51, v50, s52                             // 000000009CD4: D1ED00B4 00D26533
	v_cmp_u_f32_e64 s[48:49], v186, v186                       // 000000009CDC: D0480030 000375BA
	v_add3_u32 v44, v186, v47, 1                               // 000000009CE4: D1FF002C 02065FBA
	v_cndmask_b32_e64 v50, v44, v46, s[48:49]                  // 000000009CEC: D1000032 00C25D2C
	v_cmp_u_f32_e64 s[48:49], v187, v187                       // 000000009CF4: D0480030 000377BB
	v_add3_u32 v44, v187, v47, 1                               // 000000009CFC: D1FF002C 02065FBB
	v_cndmask_b32_e64 v51, v44, v46, s[48:49]                  // 000000009D04: D1000033 00C25D2C
	v_perm_b32 v181, v51, v50, s52                             // 000000009D0C: D1ED00B5 00D26533
	v_cmp_u_f32_e64 s[48:49], v188, v188                       // 000000009D14: D0480030 000379BC
	v_add3_u32 v44, v188, v47, 1                               // 000000009D1C: D1FF002C 02065FBC
	v_cndmask_b32_e64 v50, v44, v46, s[48:49]                  // 000000009D24: D1000032 00C25D2C
	v_cmp_u_f32_e64 s[48:49], v189, v189                       // 000000009D2C: D0480030 00037BBD
	v_add3_u32 v44, v189, v47, 1                               // 000000009D34: D1FF002C 02065FBD
	v_cndmask_b32_e64 v51, v44, v46, s[48:49]                  // 000000009D3C: D1000033 00C25D2C
	v_perm_b32 v182, v51, v50, s52                             // 000000009D44: D1ED00B6 00D26533
	v_cmp_u_f32_e64 s[48:49], v190, v190                       // 000000009D4C: D0480030 00037DBE
	v_add3_u32 v44, v190, v47, 1                               // 000000009D54: D1FF002C 02065FBE
	v_cndmask_b32_e64 v50, v44, v46, s[48:49]                  // 000000009D5C: D1000032 00C25D2C
	v_cmp_u_f32_e64 s[48:49], v191, v191                       // 000000009D64: D0480030 00037FBF
	v_add3_u32 v44, v191, v47, 1                               // 000000009D6C: D1FF002C 02065FBF
	v_cndmask_b32_e64 v51, v44, v46, s[48:49]                  // 000000009D74: D1000033 00C25D2C
	v_perm_b32 v183, v51, v50, s52                             // 000000009D7C: D1ED00B7 00D26533
	v_cmp_u_f32_e64 s[48:49], v192, v192                       // 000000009D84: D0480030 000381C0
	v_add3_u32 v44, v192, v47, 1                               // 000000009D8C: D1FF002C 02065FC0
	v_cndmask_b32_e64 v50, v44, v46, s[48:49]                  // 000000009D94: D1000032 00C25D2C
	v_cmp_u_f32_e64 s[48:49], v193, v193                       // 000000009D9C: D0480030 000383C1
	v_add3_u32 v44, v193, v47, 1                               // 000000009DA4: D1FF002C 02065FC1
	v_cndmask_b32_e64 v51, v44, v46, s[48:49]                  // 000000009DAC: D1000033 00C25D2C
	v_perm_b32 v184, v51, v50, s52                             // 000000009DB4: D1ED00B8 00D26533
	v_cmp_u_f32_e64 s[48:49], v194, v194                       // 000000009DBC: D0480030 000385C2
	v_add3_u32 v44, v194, v47, 1                               // 000000009DC4: D1FF002C 02065FC2
	v_cndmask_b32_e64 v50, v44, v46, s[48:49]                  // 000000009DCC: D1000032 00C25D2C
	v_cmp_u_f32_e64 s[48:49], v195, v195                       // 000000009DD4: D0480030 000387C3
	v_add3_u32 v44, v195, v47, 1                               // 000000009DDC: D1FF002C 02065FC3
	v_cndmask_b32_e64 v51, v44, v46, s[48:49]                  // 000000009DE4: D1000033 00C25D2C
	v_perm_b32 v185, v51, v50, s52                             // 000000009DEC: D1ED00B9 00D26533
	v_cmp_u_f32_e64 s[48:49], v196, v196                       // 000000009DF4: D0480030 000389C4
	v_add3_u32 v44, v196, v47, 1                               // 000000009DFC: D1FF002C 02065FC4
	v_cndmask_b32_e64 v50, v44, v46, s[48:49]                  // 000000009E04: D1000032 00C25D2C
	v_cmp_u_f32_e64 s[48:49], v197, v197                       // 000000009E0C: D0480030 00038BC5
	v_add3_u32 v44, v197, v47, 1                               // 000000009E14: D1FF002C 02065FC5
	v_cndmask_b32_e64 v51, v44, v46, s[48:49]                  // 000000009E1C: D1000033 00C25D2C
	v_perm_b32 v186, v51, v50, s52                             // 000000009E24: D1ED00BA 00D26533
	v_cmp_u_f32_e64 s[48:49], v198, v198                       // 000000009E2C: D0480030 00038DC6
	v_add3_u32 v44, v198, v47, 1                               // 000000009E34: D1FF002C 02065FC6
	v_cndmask_b32_e64 v50, v44, v46, s[48:49]                  // 000000009E3C: D1000032 00C25D2C
	v_cmp_u_f32_e64 s[48:49], v199, v199                       // 000000009E44: D0480030 00038FC7
	v_add3_u32 v44, v199, v47, 1                               // 000000009E4C: D1FF002C 02065FC7
	v_cndmask_b32_e64 v51, v44, v46, s[48:49]                  // 000000009E54: D1000033 00C25D2C
	v_perm_b32 v187, v51, v50, s52                             // 000000009E5C: D1ED00BB 00D26533
	v_cmp_u_f32_e64 s[48:49], v200, v200                       // 000000009E64: D0480030 000391C8
	v_add3_u32 v44, v200, v47, 1                               // 000000009E6C: D1FF002C 02065FC8
	v_cndmask_b32_e64 v50, v44, v46, s[48:49]                  // 000000009E74: D1000032 00C25D2C
	v_cmp_u_f32_e64 s[48:49], v201, v201                       // 000000009E7C: D0480030 000393C9
	v_add3_u32 v44, v201, v47, 1                               // 000000009E84: D1FF002C 02065FC9
	v_cndmask_b32_e64 v51, v44, v46, s[48:49]                  // 000000009E8C: D1000033 00C25D2C
	v_perm_b32 v188, v51, v50, s52                             // 000000009E94: D1ED00BC 00D26533
	v_cmp_u_f32_e64 s[48:49], v202, v202                       // 000000009E9C: D0480030 000395CA
	v_add3_u32 v44, v202, v47, 1                               // 000000009EA4: D1FF002C 02065FCA
	v_cndmask_b32_e64 v50, v44, v46, s[48:49]                  // 000000009EAC: D1000032 00C25D2C
	v_cmp_u_f32_e64 s[48:49], v203, v203                       // 000000009EB4: D0480030 000397CB
	v_add3_u32 v44, v203, v47, 1                               // 000000009EBC: D1FF002C 02065FCB
	v_cndmask_b32_e64 v51, v44, v46, s[48:49]                  // 000000009EC4: D1000033 00C25D2C
	v_perm_b32 v189, v51, v50, s52                             // 000000009ECC: D1ED00BD 00D26533
	v_cmp_u_f32_e64 s[48:49], v204, v204                       // 000000009ED4: D0480030 000399CC
	v_add3_u32 v44, v204, v47, 1                               // 000000009EDC: D1FF002C 02065FCC
	v_cndmask_b32_e64 v50, v44, v46, s[48:49]                  // 000000009EE4: D1000032 00C25D2C
	v_cmp_u_f32_e64 s[48:49], v205, v205                       // 000000009EEC: D0480030 00039BCD
	v_add3_u32 v44, v205, v47, 1                               // 000000009EF4: D1FF002C 02065FCD
	v_cndmask_b32_e64 v51, v44, v46, s[48:49]                  // 000000009EFC: D1000033 00C25D2C
	v_perm_b32 v190, v51, v50, s52                             // 000000009F04: D1ED00BE 00D26533
	v_cmp_u_f32_e64 s[48:49], v206, v206                       // 000000009F0C: D0480030 00039DCE
	v_add3_u32 v44, v206, v47, 1                               // 000000009F14: D1FF002C 02065FCE
	v_cndmask_b32_e64 v50, v44, v46, s[48:49]                  // 000000009F1C: D1000032 00C25D2C
	v_cmp_u_f32_e64 s[48:49], v207, v207                       // 000000009F24: D0480030 00039FCF
	v_add3_u32 v44, v207, v47, 1                               // 000000009F2C: D1FF002C 02065FCF
	v_cndmask_b32_e64 v51, v44, v46, s[48:49]                  // 000000009F34: D1000033 00C25D2C
	v_perm_b32 v191, v51, v50, s52                             // 000000009F3C: D1ED00BF 00D26533
	ds_write_b64 v3, v[176:177] offset:30976                   // 000000009F44: D89A7900 0000B003
	ds_write_b64 v3, v[178:179] offset:39680                   // 000000009F4C: D89A9B00 0000B203
	ds_write_b64 v3, v[180:181] offset:33152                   // 000000009F54: D89A8180 0000B403
	ds_write_b64 v3, v[182:183] offset:41856                   // 000000009F5C: D89AA380 0000B603
	ds_write_b64 v3, v[184:185] offset:35328                   // 000000009F64: D89A8A00 0000B803
	ds_write_b64 v3, v[186:187] offset:44032                   // 000000009F6C: D89AAC00 0000BA03
	ds_write_b64 v3, v[188:189] offset:37504                   // 000000009F74: D89A9280 0000BC03
	ds_write_b64 v3, v[190:191] offset:46208                   // 000000009F7C: D89AB480 0000BE03
	s_waitcnt lgkmcnt(0)                                       // 000000009F84: BF8CC07F
	s_barrier                                                  // 000000009F88: BF8A0000
	ds_read_b32 v64, v4 offset:30976                           // 000000009F8C: D86C7900 40000004
	ds_read_b32 v65, v4 offset:35328                           // 000000009F94: D86C8A00 41000004
	ds_read_b32 v66, v4 offset:31008                           // 000000009F9C: D86C7920 42000004
	ds_read_b32 v67, v4 offset:35360                           // 000000009FA4: D86C8A20 43000004
	ds_read_b32 v68, v4 offset:31040                           // 000000009FAC: D86C7940 44000004
	ds_read_b32 v69, v4 offset:35392                           // 000000009FB4: D86C8A40 45000004
	ds_read_b32 v70, v4 offset:31072                           // 000000009FBC: D86C7960 46000004
	ds_read_b32 v71, v4 offset:35424                           // 000000009FC4: D86C8A60 47000004
	ds_read_b32 v72, v4 offset:39680                           // 000000009FCC: D86C9B00 48000004
	ds_read_b32 v73, v4 offset:44032                           // 000000009FD4: D86CAC00 49000004
	ds_read_b32 v74, v4 offset:39712                           // 000000009FDC: D86C9B20 4A000004
	ds_read_b32 v75, v4 offset:44064                           // 000000009FE4: D86CAC20 4B000004
	ds_read_b32 v76, v4 offset:39744                           // 000000009FEC: D86C9B40 4C000004
	ds_read_b32 v77, v4 offset:44096                           // 000000009FF4: D86CAC40 4D000004
	ds_read_b32 v78, v4 offset:39776                           // 000000009FFC: D86C9B60 4E000004
	ds_read_b32 v79, v4 offset:44128                           // 00000000A004: D86CAC60 4F000004
	s_waitcnt lgkmcnt(0)                                       // 00000000A00C: BF8CC07F
	s_mov_b64 exec, s[20:21]                                   // 00000000A010: BEFE0114
	global_atomic_pk_add_bf16 v80, v64, s[8:9]                 // 00000000A014: DD488000 00084050
	s_mov_b64 exec, s[36:37]                                   // 00000000A01C: BEFE0124
	s_mov_b64 exec, s[20:21]                                   // 00000000A020: BEFE0114
	global_atomic_pk_add_bf16 v80, v65, s[8:9] offset:256      // 00000000A024: DD488100 00084150
	s_mov_b64 exec, s[36:37]                                   // 00000000A02C: BEFE0124
	s_mov_b64 exec, s[22:23]                                   // 00000000A030: BEFE0116
	global_atomic_pk_add_bf16 v82, v66, s[8:9]                 // 00000000A034: DD488000 00084252
	s_mov_b64 exec, s[36:37]                                   // 00000000A03C: BEFE0124
	s_mov_b64 exec, s[22:23]                                   // 00000000A040: BEFE0116
	global_atomic_pk_add_bf16 v82, v67, s[8:9] offset:256      // 00000000A044: DD488100 00084352
	s_mov_b64 exec, s[36:37]                                   // 00000000A04C: BEFE0124
	s_mov_b64 exec, s[24:25]                                   // 00000000A050: BEFE0118
	global_atomic_pk_add_bf16 v84, v68, s[8:9]                 // 00000000A054: DD488000 00084454
	s_mov_b64 exec, s[36:37]                                   // 00000000A05C: BEFE0124
	s_mov_b64 exec, s[24:25]                                   // 00000000A060: BEFE0118
	global_atomic_pk_add_bf16 v84, v69, s[8:9] offset:256      // 00000000A064: DD488100 00084554
	s_mov_b64 exec, s[36:37]                                   // 00000000A06C: BEFE0124
	s_mov_b64 exec, s[26:27]                                   // 00000000A070: BEFE011A
	global_atomic_pk_add_bf16 v86, v70, s[8:9]                 // 00000000A074: DD488000 00084656
	s_mov_b64 exec, s[36:37]                                   // 00000000A07C: BEFE0124
	s_mov_b64 exec, s[26:27]                                   // 00000000A080: BEFE011A
	global_atomic_pk_add_bf16 v86, v71, s[8:9] offset:256      // 00000000A084: DD488100 00084756
	s_mov_b64 exec, s[36:37]                                   // 00000000A08C: BEFE0124
	s_mov_b64 exec, s[28:29]                                   // 00000000A090: BEFE011C
	global_atomic_pk_add_bf16 v88, v72, s[8:9]                 // 00000000A094: DD488000 00084858
	s_mov_b64 exec, s[36:37]                                   // 00000000A09C: BEFE0124
	s_mov_b64 exec, s[28:29]                                   // 00000000A0A0: BEFE011C
	global_atomic_pk_add_bf16 v88, v73, s[8:9] offset:256      // 00000000A0A4: DD488100 00084958
	s_mov_b64 exec, s[36:37]                                   // 00000000A0AC: BEFE0124
	s_mov_b64 exec, s[30:31]                                   // 00000000A0B0: BEFE011E
	global_atomic_pk_add_bf16 v90, v74, s[8:9]                 // 00000000A0B4: DD488000 00084A5A
	s_mov_b64 exec, s[36:37]                                   // 00000000A0BC: BEFE0124
	s_mov_b64 exec, s[30:31]                                   // 00000000A0C0: BEFE011E
	global_atomic_pk_add_bf16 v90, v75, s[8:9] offset:256      // 00000000A0C4: DD488100 00084B5A
	s_mov_b64 exec, s[36:37]                                   // 00000000A0CC: BEFE0124
	s_mov_b64 exec, s[32:33]                                   // 00000000A0D0: BEFE0120
	global_atomic_pk_add_bf16 v92, v76, s[8:9]                 // 00000000A0D4: DD488000 00084C5C
	s_mov_b64 exec, s[36:37]                                   // 00000000A0DC: BEFE0124
	s_mov_b64 exec, s[32:33]                                   // 00000000A0E0: BEFE0120
	global_atomic_pk_add_bf16 v92, v77, s[8:9] offset:256      // 00000000A0E4: DD488100 00084D5C
	s_mov_b64 exec, s[36:37]                                   // 00000000A0EC: BEFE0124
	s_mov_b64 exec, s[34:35]                                   // 00000000A0F0: BEFE0122
	global_atomic_pk_add_bf16 v94, v78, s[8:9]                 // 00000000A0F4: DD488000 00084E5E
	s_mov_b64 exec, s[36:37]                                   // 00000000A0FC: BEFE0124
	s_mov_b64 exec, s[34:35]                                   // 00000000A100: BEFE0122
	global_atomic_pk_add_bf16 v94, v79, s[8:9] offset:256      // 00000000A104: DD488100 00084F5E
	s_mov_b64 exec, s[36:37]                                   // 00000000A10C: BEFE0124
	s_add_u32 s8, s59, s8                                      // 00000000A110: 8008083B
	s_addc_u32 s9, 0, s9                                       // 00000000A114: 82090980
	s_addk_i32 s80, 0x100                                      // 00000000A118: B7500100
	s_cmp_lt_i32 s80, s81                                      // 00000000A11C: BF045150
	s_cbranch_scc0 label_1188                                  // 00000000A120: BF84F3FF
	s_waitcnt vmcnt(37)                                        // 00000000A124: BF8C8F75
	s_barrier                                                  // 00000000A128: BF8A0000
	v_mfma_f32_16x16x32_fp8_fp8 v[208:211], a[96:97], v[128:129], 0// 00000000A12C: D3F300D0 0A030160
	buffer_load_dwordx4 a[0:3], v40, s[12:15], 0 offen         // 00000000A134: E05C1000 80830028
	v_mfma_f32_16x16x32_fp8_fp8 v[208:211], a[98:99], v[130:131], v[208:211]// 00000000A13C: D3F300D0 0F430562
	v_mfma_f32_16x16x32_fp8_fp8 v[212:215], a[96:97], v[152:153], 0// 00000000A144: D3F300D4 0A033160
	v_mfma_f32_16x16x32_fp8_fp8 v[212:215], a[98:99], v[154:155], v[212:215]// 00000000A14C: D3F300D4 0F533562
	v_mfma_f32_16x16x32_fp8_fp8 v[216:219], a[100:101], v[128:129], 0// 00000000A154: D3F300D8 0A030164
	buffer_load_dwordx4 a[4:7], v41, s[12:15], 0 offen         // 00000000A15C: E05C1000 80830429
	v_mfma_f32_16x16x32_fp8_fp8 v[216:219], a[102:103], v[130:131], v[216:219]// 00000000A164: D3F300D8 0F630566
	v_mfma_f32_16x16x32_fp8_fp8 v[220:223], a[100:101], v[152:153], 0// 00000000A16C: D3F300DC 0A033164
	v_mfma_f32_16x16x32_fp8_fp8 v[220:223], a[102:103], v[154:155], v[220:223]// 00000000A174: D3F300DC 0F733566
	v_mfma_f32_16x16x32_fp8_fp8 v[224:227], a[104:105], v[128:129], 0// 00000000A17C: D3F300E0 0A030168
	buffer_load_dwordx4 a[8:11], v42, s[12:15], 0 offen        // 00000000A184: E05C1000 8083082A
	v_mfma_f32_16x16x32_fp8_fp8 v[224:227], a[106:107], v[130:131], v[224:227]// 00000000A18C: D3F300E0 0F83056A
	v_mfma_f32_16x16x32_fp8_fp8 v[228:231], a[104:105], v[152:153], 0// 00000000A194: D3F300E4 0A033168
	v_mfma_f32_16x16x32_fp8_fp8 v[228:231], a[106:107], v[154:155], v[228:231]// 00000000A19C: D3F300E4 0F93356A
	v_mfma_f32_16x16x32_fp8_fp8 v[232:235], a[108:109], v[128:129], 0// 00000000A1A4: D3F300E8 0A03016C
	buffer_load_dwordx4 a[12:15], v43, s[12:15], 0 offen       // 00000000A1AC: E05C1000 80830C2B
	s_add_u32 s12, s78, s12                                    // 00000000A1B4: 800C0C4E
	s_addc_u32 s13, 0, s13                                     // 00000000A1B8: 820D0D80
	v_mfma_f32_16x16x32_fp8_fp8 v[232:235], a[110:111], v[130:131], v[232:235]// 00000000A1BC: D3F300E8 0FA3056E
	v_mfma_f32_16x16x32_fp8_fp8 v[236:239], a[108:109], v[152:153], 0// 00000000A1C4: D3F300EC 0A03316C
	v_mfma_f32_16x16x32_fp8_fp8 v[236:239], a[110:111], v[154:155], v[236:239]// 00000000A1CC: D3F300EC 0FB3356E
	s_waitcnt vmcnt(37)                                        // 00000000A1D4: BF8C8F75
	v_mfma_f32_16x16x32_fp8_fp8 v[208:211], a[112:113], v[132:133], v[208:211]// 00000000A1D8: D3F300D0 0F430970
	buffer_load_dwordx4 a[16:19], v40, s[12:15], 0 offen       // 00000000A1E0: E05C1000 80831028
	v_mfma_f32_16x16x32_fp8_fp8 v[208:211], a[114:115], v[134:135], v[208:211]// 00000000A1E8: D3F300D0 0F430D72
	v_mfma_f32_16x16x32_fp8_fp8 v[212:215], a[112:113], v[156:157], v[212:215]// 00000000A1F0: D3F300D4 0F533970
	v_mfma_f32_16x16x32_fp8_fp8 v[212:215], a[114:115], v[158:159], v[212:215]// 00000000A1F8: D3F300D4 0F533D72
	v_mfma_f32_16x16x32_fp8_fp8 v[216:219], a[116:117], v[132:133], v[216:219]// 00000000A200: D3F300D8 0F630974
	buffer_load_dwordx4 a[20:23], v41, s[12:15], 0 offen       // 00000000A208: E05C1000 80831429
	v_mfma_f32_16x16x32_fp8_fp8 v[216:219], a[118:119], v[134:135], v[216:219]// 00000000A210: D3F300D8 0F630D76
	v_mfma_f32_16x16x32_fp8_fp8 v[220:223], a[116:117], v[156:157], v[220:223]// 00000000A218: D3F300DC 0F733974
	v_mfma_f32_16x16x32_fp8_fp8 v[220:223], a[118:119], v[158:159], v[220:223]// 00000000A220: D3F300DC 0F733D76
	v_mfma_f32_16x16x32_fp8_fp8 v[224:227], a[120:121], v[132:133], v[224:227]// 00000000A228: D3F300E0 0F830978
	buffer_load_dwordx4 a[24:27], v42, s[12:15], 0 offen       // 00000000A230: E05C1000 8083182A
	v_mfma_f32_16x16x32_fp8_fp8 v[224:227], a[122:123], v[134:135], v[224:227]// 00000000A238: D3F300E0 0F830D7A
	v_mfma_f32_16x16x32_fp8_fp8 v[228:231], a[120:121], v[156:157], v[228:231]// 00000000A240: D3F300E4 0F933978
	v_mfma_f32_16x16x32_fp8_fp8 v[228:231], a[122:123], v[158:159], v[228:231]// 00000000A248: D3F300E4 0F933D7A
	v_mfma_f32_16x16x32_fp8_fp8 v[232:235], a[124:125], v[132:133], v[232:235]// 00000000A250: D3F300E8 0FA3097C
	buffer_load_dwordx4 a[28:31], v43, s[12:15], 0 offen       // 00000000A258: E05C1000 80831C2B
	s_add_u32 s12, s78, s12                                    // 00000000A260: 800C0C4E
	s_addc_u32 s13, 0, s13                                     // 00000000A264: 820D0D80
	v_mfma_f32_16x16x32_fp8_fp8 v[232:235], a[126:127], v[134:135], v[232:235]// 00000000A268: D3F300E8 0FA30D7E
	v_mfma_f32_16x16x32_fp8_fp8 v[236:239], a[124:125], v[156:157], v[236:239]// 00000000A270: D3F300EC 0FB3397C
	v_mfma_f32_16x16x32_fp8_fp8 v[236:239], a[126:127], v[158:159], v[236:239]// 00000000A278: D3F300EC 0FB33D7E
	s_waitcnt vmcnt(37)                                        // 00000000A280: BF8C8F75
	v_mfma_f32_16x16x32_fp8_fp8 v[208:211], a[128:129], v[136:137], v[208:211]// 00000000A284: D3F300D0 0F431180
	buffer_load_dwordx4 a[32:35], v40, s[12:15], 0 offen       // 00000000A28C: E05C1000 80832028
	v_mfma_f32_16x16x32_fp8_fp8 v[208:211], a[130:131], v[138:139], v[208:211]// 00000000A294: D3F300D0 0F431582
	v_mfma_f32_16x16x32_fp8_fp8 v[212:215], a[128:129], v[160:161], v[212:215]// 00000000A29C: D3F300D4 0F534180
	v_mfma_f32_16x16x32_fp8_fp8 v[212:215], a[130:131], v[162:163], v[212:215]// 00000000A2A4: D3F300D4 0F534582
	v_mfma_f32_16x16x32_fp8_fp8 v[216:219], a[132:133], v[136:137], v[216:219]// 00000000A2AC: D3F300D8 0F631184
	buffer_load_dwordx4 a[36:39], v41, s[12:15], 0 offen       // 00000000A2B4: E05C1000 80832429
	v_mfma_f32_16x16x32_fp8_fp8 v[216:219], a[134:135], v[138:139], v[216:219]// 00000000A2BC: D3F300D8 0F631586
	v_mfma_f32_16x16x32_fp8_fp8 v[220:223], a[132:133], v[160:161], v[220:223]// 00000000A2C4: D3F300DC 0F734184
	v_mfma_f32_16x16x32_fp8_fp8 v[220:223], a[134:135], v[162:163], v[220:223]// 00000000A2CC: D3F300DC 0F734586
	v_mfma_f32_16x16x32_fp8_fp8 v[224:227], a[136:137], v[136:137], v[224:227]// 00000000A2D4: D3F300E0 0F831188
	buffer_load_dwordx4 a[40:43], v42, s[12:15], 0 offen       // 00000000A2DC: E05C1000 8083282A
	v_mfma_f32_16x16x32_fp8_fp8 v[224:227], a[138:139], v[138:139], v[224:227]// 00000000A2E4: D3F300E0 0F83158A
	v_mfma_f32_16x16x32_fp8_fp8 v[228:231], a[136:137], v[160:161], v[228:231]// 00000000A2EC: D3F300E4 0F934188
	v_mfma_f32_16x16x32_fp8_fp8 v[228:231], a[138:139], v[162:163], v[228:231]// 00000000A2F4: D3F300E4 0F93458A
	v_mfma_f32_16x16x32_fp8_fp8 v[232:235], a[140:141], v[136:137], v[232:235]// 00000000A2FC: D3F300E8 0FA3118C
	buffer_load_dwordx4 a[44:47], v43, s[12:15], 0 offen       // 00000000A304: E05C1000 80832C2B
	s_add_u32 s12, s78, s12                                    // 00000000A30C: 800C0C4E
	s_addc_u32 s13, 0, s13                                     // 00000000A310: 820D0D80
	v_mfma_f32_16x16x32_fp8_fp8 v[232:235], a[142:143], v[138:139], v[232:235]// 00000000A314: D3F300E8 0FA3158E
	v_mfma_f32_16x16x32_fp8_fp8 v[236:239], a[140:141], v[160:161], v[236:239]// 00000000A31C: D3F300EC 0FB3418C
	v_mfma_f32_16x16x32_fp8_fp8 v[236:239], a[142:143], v[162:163], v[236:239]// 00000000A324: D3F300EC 0FB3458E
	s_waitcnt vmcnt(37)                                        // 00000000A32C: BF8C8F75
	v_mfma_f32_16x16x32_fp8_fp8 v[208:211], a[144:145], v[140:141], v[208:211]// 00000000A330: D3F300D0 0F431990
	buffer_load_dwordx4 a[48:51], v40, s[12:15], 0 offen       // 00000000A338: E05C1000 80833028
	v_mfma_f32_16x16x32_fp8_fp8 v[208:211], a[146:147], v[142:143], v[208:211]// 00000000A340: D3F300D0 0F431D92
	v_mfma_f32_16x16x32_fp8_fp8 v[212:215], a[144:145], v[164:165], v[212:215]// 00000000A348: D3F300D4 0F534990
	v_mfma_f32_16x16x32_fp8_fp8 v[212:215], a[146:147], v[166:167], v[212:215]// 00000000A350: D3F300D4 0F534D92
	v_mfma_f32_16x16x32_fp8_fp8 v[216:219], a[148:149], v[140:141], v[216:219]// 00000000A358: D3F300D8 0F631994
	buffer_load_dwordx4 a[52:55], v41, s[12:15], 0 offen       // 00000000A360: E05C1000 80833429
	v_mfma_f32_16x16x32_fp8_fp8 v[216:219], a[150:151], v[142:143], v[216:219]// 00000000A368: D3F300D8 0F631D96
	v_mfma_f32_16x16x32_fp8_fp8 v[220:223], a[148:149], v[164:165], v[220:223]// 00000000A370: D3F300DC 0F734994
	v_mfma_f32_16x16x32_fp8_fp8 v[220:223], a[150:151], v[166:167], v[220:223]// 00000000A378: D3F300DC 0F734D96
	v_mfma_f32_16x16x32_fp8_fp8 v[224:227], a[152:153], v[140:141], v[224:227]// 00000000A380: D3F300E0 0F831998
	buffer_load_dwordx4 a[56:59], v42, s[12:15], 0 offen       // 00000000A388: E05C1000 8083382A
	v_mfma_f32_16x16x32_fp8_fp8 v[224:227], a[154:155], v[142:143], v[224:227]// 00000000A390: D3F300E0 0F831D9A
	v_mfma_f32_16x16x32_fp8_fp8 v[228:231], a[152:153], v[164:165], v[228:231]// 00000000A398: D3F300E4 0F934998
	v_mfma_f32_16x16x32_fp8_fp8 v[228:231], a[154:155], v[166:167], v[228:231]// 00000000A3A0: D3F300E4 0F934D9A
	v_mfma_f32_16x16x32_fp8_fp8 v[232:235], a[156:157], v[140:141], v[232:235]// 00000000A3A8: D3F300E8 0FA3199C
	buffer_load_dwordx4 a[60:63], v43, s[12:15], 0 offen       // 00000000A3B0: E05C1000 80833C2B
	s_add_u32 s12, s78, s12                                    // 00000000A3B8: 800C0C4E
	s_addc_u32 s13, 0, s13                                     // 00000000A3BC: 820D0D80
	v_mfma_f32_16x16x32_fp8_fp8 v[232:235], a[158:159], v[142:143], v[232:235]// 00000000A3C0: D3F300E8 0FA31D9E
	v_mfma_f32_16x16x32_fp8_fp8 v[236:239], a[156:157], v[164:165], v[236:239]// 00000000A3C8: D3F300EC 0FB3499C
	v_mfma_f32_16x16x32_fp8_fp8 v[236:239], a[158:159], v[166:167], v[236:239]// 00000000A3D0: D3F300EC 0FB34D9E
	s_waitcnt vmcnt(37)                                        // 00000000A3D8: BF8C8F75
	v_mfma_f32_16x16x32_fp8_fp8 v[208:211], a[160:161], v[144:145], v[208:211]// 00000000A3DC: D3F300D0 0F4321A0
	buffer_load_dwordx4 a[64:67], v40, s[12:15], 0 offen       // 00000000A3E4: E05C1000 80834028
	v_mfma_f32_16x16x32_fp8_fp8 v[208:211], a[162:163], v[146:147], v[208:211]// 00000000A3EC: D3F300D0 0F4325A2
	v_mfma_f32_16x16x32_fp8_fp8 v[212:215], a[160:161], v[168:169], v[212:215]// 00000000A3F4: D3F300D4 0F5351A0
	v_mfma_f32_16x16x32_fp8_fp8 v[212:215], a[162:163], v[170:171], v[212:215]// 00000000A3FC: D3F300D4 0F5355A2
	v_mfma_f32_16x16x32_fp8_fp8 v[216:219], a[164:165], v[144:145], v[216:219]// 00000000A404: D3F300D8 0F6321A4
	buffer_load_dwordx4 a[68:71], v41, s[12:15], 0 offen       // 00000000A40C: E05C1000 80834429
	v_mfma_f32_16x16x32_fp8_fp8 v[216:219], a[166:167], v[146:147], v[216:219]// 00000000A414: D3F300D8 0F6325A6
	v_mfma_f32_16x16x32_fp8_fp8 v[220:223], a[164:165], v[168:169], v[220:223]// 00000000A41C: D3F300DC 0F7351A4
	v_mfma_f32_16x16x32_fp8_fp8 v[220:223], a[166:167], v[170:171], v[220:223]// 00000000A424: D3F300DC 0F7355A6
	v_mfma_f32_16x16x32_fp8_fp8 v[224:227], a[168:169], v[144:145], v[224:227]// 00000000A42C: D3F300E0 0F8321A8
	buffer_load_dwordx4 a[72:75], v42, s[12:15], 0 offen       // 00000000A434: E05C1000 8083482A
	v_mfma_f32_16x16x32_fp8_fp8 v[224:227], a[170:171], v[146:147], v[224:227]// 00000000A43C: D3F300E0 0F8325AA
	v_mfma_f32_16x16x32_fp8_fp8 v[228:231], a[168:169], v[168:169], v[228:231]// 00000000A444: D3F300E4 0F9351A8
	v_mfma_f32_16x16x32_fp8_fp8 v[228:231], a[170:171], v[170:171], v[228:231]// 00000000A44C: D3F300E4 0F9355AA
	v_mfma_f32_16x16x32_fp8_fp8 v[232:235], a[172:173], v[144:145], v[232:235]// 00000000A454: D3F300E8 0FA321AC
	buffer_load_dwordx4 a[76:79], v43, s[12:15], 0 offen       // 00000000A45C: E05C1000 80834C2B
	s_add_u32 s12, s78, s12                                    // 00000000A464: 800C0C4E
	s_addc_u32 s13, 0, s13                                     // 00000000A468: 820D0D80
	v_mfma_f32_16x16x32_fp8_fp8 v[232:235], a[174:175], v[146:147], v[232:235]// 00000000A46C: D3F300E8 0FA325AE
	v_mfma_f32_16x16x32_fp8_fp8 v[236:239], a[172:173], v[168:169], v[236:239]// 00000000A474: D3F300EC 0FB351AC
	v_mfma_f32_16x16x32_fp8_fp8 v[236:239], a[174:175], v[170:171], v[236:239]// 00000000A47C: D3F300EC 0FB355AE
	s_waitcnt vmcnt(36)                                        // 00000000A484: BF8C8F74
	v_mfma_f32_16x16x32_fp8_fp8 v[208:211], a[176:177], v[148:149], v[208:211]// 00000000A488: D3F300D0 0F4329B0
	buffer_load_dwordx4 a[80:83], v40, s[12:15], 0 offen       // 00000000A490: E05C1000 80835028
	v_mfma_f32_16x16x32_fp8_fp8 v[208:211], a[178:179], v[150:151], v[208:211]// 00000000A498: D3F300D0 0F432DB2
	v_mfma_f32_16x16x32_fp8_fp8 v[212:215], a[176:177], v[172:173], v[212:215]// 00000000A4A0: D3F300D4 0F5359B0
	buffer_load_dword v12, v5, s[16:19], 0 offen               // 00000000A4A8: E0501000 80040C05
	v_mfma_f32_16x16x32_fp8_fp8 v[212:215], a[178:179], v[174:175], v[212:215]// 00000000A4B0: D3F300D4 0F535DB2
	v_mfma_f32_16x16x32_fp8_fp8 v[216:219], a[180:181], v[148:149], v[216:219]// 00000000A4B8: D3F300D8 0F6329B4
	buffer_load_dwordx4 a[84:87], v41, s[12:15], 0 offen       // 00000000A4C0: E05C1000 80835429
	v_mfma_f32_16x16x32_fp8_fp8 v[216:219], a[182:183], v[150:151], v[216:219]// 00000000A4C8: D3F300D8 0F632DB6
	v_mfma_f32_16x16x32_fp8_fp8 v[220:223], a[180:181], v[172:173], v[220:223]// 00000000A4D0: D3F300DC 0F7359B4
	v_mfma_f32_16x16x32_fp8_fp8 v[220:223], a[182:183], v[174:175], v[220:223]// 00000000A4D8: D3F300DC 0F735DB6
	v_mfma_f32_16x16x32_fp8_fp8 v[224:227], a[184:185], v[148:149], v[224:227]// 00000000A4E0: D3F300E0 0F8329B8
	buffer_load_dwordx4 a[88:91], v42, s[12:15], 0 offen       // 00000000A4E8: E05C1000 8083582A
	v_mfma_f32_16x16x32_fp8_fp8 v[224:227], a[186:187], v[150:151], v[224:227]// 00000000A4F0: D3F300E0 0F832DBA
	v_mfma_f32_16x16x32_fp8_fp8 v[228:231], a[184:185], v[172:173], v[228:231]// 00000000A4F8: D3F300E4 0F9359B8
	v_mfma_f32_16x16x32_fp8_fp8 v[228:231], a[186:187], v[174:175], v[228:231]// 00000000A500: D3F300E4 0F935DBA
	v_mfma_f32_16x16x32_fp8_fp8 v[232:235], a[188:189], v[148:149], v[232:235]// 00000000A508: D3F300E8 0FA329BC
	buffer_load_dwordx4 a[92:95], v43, s[12:15], 0 offen       // 00000000A510: E05C1000 80835C2B
	v_mfma_f32_16x16x32_fp8_fp8 v[232:235], a[190:191], v[150:151], v[232:235]// 00000000A518: D3F300E8 0FA32DBE
	v_mfma_f32_16x16x32_fp8_fp8 v[236:239], a[188:189], v[172:173], v[236:239]// 00000000A520: D3F300EC 0FB359BC
	v_mfma_f32_16x16x32_fp8_fp8 v[236:239], a[190:191], v[174:175], v[236:239]// 00000000A528: D3F300EC 0FB35DBE
	s_add_u32 s60, 0x200, s80                                  // 00000000A530: 803C50FF 00000200
	s_cmp_lt_u32 s60, s81                                      // 00000000A538: BF0A513C
	s_cselect_b32 s56, s56, 0                                  // 00000000A53C: 85388038
	s_cselect_b32 s78, s78, 0                                  // 00000000A540: 854E804E
	s_cselect_b32 s79, s79, 0                                  // 00000000A544: 854F804F
	s_add_u32 s12, s56, s12                                    // 00000000A548: 800C0C38
	s_addc_u32 s13, 0, s13                                     // 00000000A54C: 820D0D80
	s_add_u32 s16, s79, s16                                    // 00000000A550: 8010104F
	s_addc_u32 s17, 0, s17                                     // 00000000A554: 82111180
	v_mul_f32_e32 v208, v24, v208                              // 00000000A558: 0BA1A118
	v_mul_f32_e32 v209, v24, v209                              // 00000000A55C: 0BA3A318
	v_mul_f32_e32 v210, v24, v210                              // 00000000A560: 0BA5A518
	v_mul_f32_e32 v211, v24, v211                              // 00000000A564: 0BA7A718
	v_mul_f32_dpp v208, v13, v208 row_newbcast:0 row_mask:0xf bank_mask:0xf// 00000000A568: 0BA1A0FA FF01500D
	v_mul_f32_dpp v209, v13, v209 row_newbcast:1 row_mask:0xf bank_mask:0xf// 00000000A570: 0BA3A2FA FF01510D
	v_mul_f32_dpp v210, v13, v210 row_newbcast:2 row_mask:0xf bank_mask:0xf// 00000000A578: 0BA5A4FA FF01520D
	v_mul_f32_dpp v211, v13, v211 row_newbcast:3 row_mask:0xf bank_mask:0xf// 00000000A580: 0BA7A6FA FF01530D
	v_mul_f32_e32 v208, v20, v208                              // 00000000A588: 0BA1A114
	v_mul_f32_e32 v209, v20, v209                              // 00000000A58C: 0BA3A314
	v_mul_f32_e32 v210, v20, v210                              // 00000000A590: 0BA5A514
	v_mul_f32_e32 v211, v20, v211                              // 00000000A594: 0BA7A714
	v_mul_f32_e32 v212, v25, v212                              // 00000000A598: 0BA9A919
	v_mul_f32_e32 v213, v25, v213                              // 00000000A59C: 0BABAB19
	v_mul_f32_e32 v214, v25, v214                              // 00000000A5A0: 0BADAD19
	v_mul_f32_e32 v215, v25, v215                              // 00000000A5A4: 0BAFAF19
	v_mul_f32_dpp v212, v13, v212 row_newbcast:0 row_mask:0xf bank_mask:0xf// 00000000A5A8: 0BA9A8FA FF01500D
	v_mul_f32_dpp v213, v13, v213 row_newbcast:1 row_mask:0xf bank_mask:0xf// 00000000A5B0: 0BABAAFA FF01510D
	v_mul_f32_dpp v214, v13, v214 row_newbcast:2 row_mask:0xf bank_mask:0xf// 00000000A5B8: 0BADACFA FF01520D
	v_mul_f32_dpp v215, v13, v215 row_newbcast:3 row_mask:0xf bank_mask:0xf// 00000000A5C0: 0BAFAEFA FF01530D
	v_mul_f32_e32 v212, v21, v212                              // 00000000A5C8: 0BA9A915
	v_mul_f32_e32 v213, v21, v213                              // 00000000A5CC: 0BABAB15
	v_mul_f32_e32 v214, v21, v214                              // 00000000A5D0: 0BADAD15
	v_mul_f32_e32 v215, v21, v215                              // 00000000A5D4: 0BAFAF15
	v_mul_f32_e32 v216, v24, v216                              // 00000000A5D8: 0BB1B118
	v_mul_f32_e32 v217, v24, v217                              // 00000000A5DC: 0BB3B318
	v_mul_f32_e32 v218, v24, v218                              // 00000000A5E0: 0BB5B518
	v_mul_f32_e32 v219, v24, v219                              // 00000000A5E4: 0BB7B718
	v_mul_f32_dpp v216, v13, v216 row_newbcast:4 row_mask:0xf bank_mask:0xf// 00000000A5E8: 0BB1B0FA FF01540D
	v_mul_f32_dpp v217, v13, v217 row_newbcast:5 row_mask:0xf bank_mask:0xf// 00000000A5F0: 0BB3B2FA FF01550D
	v_mul_f32_dpp v218, v13, v218 row_newbcast:6 row_mask:0xf bank_mask:0xf// 00000000A5F8: 0BB5B4FA FF01560D
	v_mul_f32_dpp v219, v13, v219 row_newbcast:7 row_mask:0xf bank_mask:0xf// 00000000A600: 0BB7B6FA FF01570D
	v_mul_f32_e32 v216, v20, v216                              // 00000000A608: 0BB1B114
	v_mul_f32_e32 v217, v20, v217                              // 00000000A60C: 0BB3B314
	v_mul_f32_e32 v218, v20, v218                              // 00000000A610: 0BB5B514
	v_mul_f32_e32 v219, v20, v219                              // 00000000A614: 0BB7B714
	v_mul_f32_e32 v220, v25, v220                              // 00000000A618: 0BB9B919
	v_mul_f32_e32 v221, v25, v221                              // 00000000A61C: 0BBBBB19
	v_mul_f32_e32 v222, v25, v222                              // 00000000A620: 0BBDBD19
	v_mul_f32_e32 v223, v25, v223                              // 00000000A624: 0BBFBF19
	v_mul_f32_dpp v220, v13, v220 row_newbcast:4 row_mask:0xf bank_mask:0xf// 00000000A628: 0BB9B8FA FF01540D
	v_mul_f32_dpp v221, v13, v221 row_newbcast:5 row_mask:0xf bank_mask:0xf// 00000000A630: 0BBBBAFA FF01550D
	v_mul_f32_dpp v222, v13, v222 row_newbcast:6 row_mask:0xf bank_mask:0xf// 00000000A638: 0BBDBCFA FF01560D
	v_mul_f32_dpp v223, v13, v223 row_newbcast:7 row_mask:0xf bank_mask:0xf// 00000000A640: 0BBFBEFA FF01570D
	v_mul_f32_e32 v220, v21, v220                              // 00000000A648: 0BB9B915
	v_mul_f32_e32 v221, v21, v221                              // 00000000A64C: 0BBBBB15
	v_mul_f32_e32 v222, v21, v222                              // 00000000A650: 0BBDBD15
	v_mul_f32_e32 v223, v21, v223                              // 00000000A654: 0BBFBF15
	v_mul_f32_e32 v224, v24, v224                              // 00000000A658: 0BC1C118
	v_mul_f32_e32 v225, v24, v225                              // 00000000A65C: 0BC3C318
	v_mul_f32_e32 v226, v24, v226                              // 00000000A660: 0BC5C518
	v_mul_f32_e32 v227, v24, v227                              // 00000000A664: 0BC7C718
	v_mul_f32_dpp v224, v13, v224 row_newbcast:8 row_mask:0xf bank_mask:0xf// 00000000A668: 0BC1C0FA FF01580D
	v_mul_f32_dpp v225, v13, v225 row_newbcast:9 row_mask:0xf bank_mask:0xf// 00000000A670: 0BC3C2FA FF01590D
	v_mul_f32_dpp v226, v13, v226 row_newbcast:10 row_mask:0xf bank_mask:0xf// 00000000A678: 0BC5C4FA FF015A0D
	v_mul_f32_dpp v227, v13, v227 row_newbcast:11 row_mask:0xf bank_mask:0xf// 00000000A680: 0BC7C6FA FF015B0D
	v_mul_f32_e32 v224, v20, v224                              // 00000000A688: 0BC1C114
	v_mul_f32_e32 v225, v20, v225                              // 00000000A68C: 0BC3C314
	v_mul_f32_e32 v226, v20, v226                              // 00000000A690: 0BC5C514
	v_mul_f32_e32 v227, v20, v227                              // 00000000A694: 0BC7C714
	v_mul_f32_e32 v228, v25, v228                              // 00000000A698: 0BC9C919
	v_mul_f32_e32 v229, v25, v229                              // 00000000A69C: 0BCBCB19
	v_mul_f32_e32 v230, v25, v230                              // 00000000A6A0: 0BCDCD19
	v_mul_f32_e32 v231, v25, v231                              // 00000000A6A4: 0BCFCF19
	v_mul_f32_dpp v228, v13, v228 row_newbcast:8 row_mask:0xf bank_mask:0xf// 00000000A6A8: 0BC9C8FA FF01580D
	v_mul_f32_dpp v229, v13, v229 row_newbcast:9 row_mask:0xf bank_mask:0xf// 00000000A6B0: 0BCBCAFA FF01590D
	v_mul_f32_dpp v230, v13, v230 row_newbcast:10 row_mask:0xf bank_mask:0xf// 00000000A6B8: 0BCDCCFA FF015A0D
	v_mul_f32_dpp v231, v13, v231 row_newbcast:11 row_mask:0xf bank_mask:0xf// 00000000A6C0: 0BCFCEFA FF015B0D
	v_mul_f32_e32 v228, v21, v228                              // 00000000A6C8: 0BC9C915
	v_mul_f32_e32 v229, v21, v229                              // 00000000A6CC: 0BCBCB15
	v_mul_f32_e32 v230, v21, v230                              // 00000000A6D0: 0BCDCD15
	v_mul_f32_e32 v231, v21, v231                              // 00000000A6D4: 0BCFCF15
	v_mul_f32_e32 v232, v24, v232                              // 00000000A6D8: 0BD1D118
	v_mul_f32_e32 v233, v24, v233                              // 00000000A6DC: 0BD3D318
	v_mul_f32_e32 v234, v24, v234                              // 00000000A6E0: 0BD5D518
	v_mul_f32_e32 v235, v24, v235                              // 00000000A6E4: 0BD7D718
	v_mul_f32_dpp v232, v13, v232 row_newbcast:12 row_mask:0xf bank_mask:0xf// 00000000A6E8: 0BD1D0FA FF015C0D
	v_mul_f32_dpp v233, v13, v233 row_newbcast:13 row_mask:0xf bank_mask:0xf// 00000000A6F0: 0BD3D2FA FF015D0D
	v_mul_f32_dpp v234, v13, v234 row_newbcast:14 row_mask:0xf bank_mask:0xf// 00000000A6F8: 0BD5D4FA FF015E0D
	v_mul_f32_dpp v235, v13, v235 row_newbcast:15 row_mask:0xf bank_mask:0xf// 00000000A700: 0BD7D6FA FF015F0D
	v_mul_f32_e32 v232, v20, v232                              // 00000000A708: 0BD1D114
	v_mul_f32_e32 v233, v20, v233                              // 00000000A70C: 0BD3D314
	v_mul_f32_e32 v234, v20, v234                              // 00000000A710: 0BD5D514
	v_mul_f32_e32 v235, v20, v235                              // 00000000A714: 0BD7D714
	v_mul_f32_e32 v236, v25, v236                              // 00000000A718: 0BD9D919
	v_mul_f32_e32 v237, v25, v237                              // 00000000A71C: 0BDBDB19
	v_mul_f32_e32 v238, v25, v238                              // 00000000A720: 0BDDDD19
	v_mul_f32_e32 v239, v25, v239                              // 00000000A724: 0BDFDF19
	v_mul_f32_dpp v236, v13, v236 row_newbcast:12 row_mask:0xf bank_mask:0xf// 00000000A728: 0BD9D8FA FF015C0D
	v_mul_f32_dpp v237, v13, v237 row_newbcast:13 row_mask:0xf bank_mask:0xf// 00000000A730: 0BDBDAFA FF015D0D
	v_mul_f32_dpp v238, v13, v238 row_newbcast:14 row_mask:0xf bank_mask:0xf// 00000000A738: 0BDDDCFA FF015E0D
	v_mul_f32_dpp v239, v13, v239 row_newbcast:15 row_mask:0xf bank_mask:0xf// 00000000A740: 0BDFDEFA FF015F0D
	v_mul_f32_e32 v236, v21, v236                              // 00000000A748: 0BD9D915
	v_mul_f32_e32 v237, v21, v237                              // 00000000A74C: 0BDBDB15
	v_mul_f32_e32 v238, v21, v238                              // 00000000A750: 0BDDDD15
	v_mul_f32_e32 v239, v21, v239                              // 00000000A754: 0BDFDF15
	v_cmp_u_f32_e64 s[48:49], v208, v208                       // 00000000A758: D0480030 0003A1D0
	v_add3_u32 v44, v208, v47, 1                               // 00000000A760: D1FF002C 02065FD0
	v_cndmask_b32_e64 v50, v44, v46, s[48:49]                  // 00000000A768: D1000032 00C25D2C
	v_cmp_u_f32_e64 s[48:49], v209, v209                       // 00000000A770: D0480030 0003A3D1
	v_add3_u32 v44, v209, v47, 1                               // 00000000A778: D1FF002C 02065FD1
	v_cndmask_b32_e64 v51, v44, v46, s[48:49]                  // 00000000A780: D1000033 00C25D2C
	v_perm_b32 v208, v51, v50, s52                             // 00000000A788: D1ED00D0 00D26533
	v_cmp_u_f32_e64 s[48:49], v210, v210                       // 00000000A790: D0480030 0003A5D2
	v_add3_u32 v44, v210, v47, 1                               // 00000000A798: D1FF002C 02065FD2
	v_cndmask_b32_e64 v50, v44, v46, s[48:49]                  // 00000000A7A0: D1000032 00C25D2C
	v_cmp_u_f32_e64 s[48:49], v211, v211                       // 00000000A7A8: D0480030 0003A7D3
	v_add3_u32 v44, v211, v47, 1                               // 00000000A7B0: D1FF002C 02065FD3
	v_cndmask_b32_e64 v51, v44, v46, s[48:49]                  // 00000000A7B8: D1000033 00C25D2C
	v_perm_b32 v209, v51, v50, s52                             // 00000000A7C0: D1ED00D1 00D26533
	v_cmp_u_f32_e64 s[48:49], v212, v212                       // 00000000A7C8: D0480030 0003A9D4
	v_add3_u32 v44, v212, v47, 1                               // 00000000A7D0: D1FF002C 02065FD4
	v_cndmask_b32_e64 v50, v44, v46, s[48:49]                  // 00000000A7D8: D1000032 00C25D2C
	v_cmp_u_f32_e64 s[48:49], v213, v213                       // 00000000A7E0: D0480030 0003ABD5
	v_add3_u32 v44, v213, v47, 1                               // 00000000A7E8: D1FF002C 02065FD5
	v_cndmask_b32_e64 v51, v44, v46, s[48:49]                  // 00000000A7F0: D1000033 00C25D2C
	v_perm_b32 v210, v51, v50, s52                             // 00000000A7F8: D1ED00D2 00D26533
	v_cmp_u_f32_e64 s[48:49], v214, v214                       // 00000000A800: D0480030 0003ADD6
	v_add3_u32 v44, v214, v47, 1                               // 00000000A808: D1FF002C 02065FD6
	v_cndmask_b32_e64 v50, v44, v46, s[48:49]                  // 00000000A810: D1000032 00C25D2C
	v_cmp_u_f32_e64 s[48:49], v215, v215                       // 00000000A818: D0480030 0003AFD7
	v_add3_u32 v44, v215, v47, 1                               // 00000000A820: D1FF002C 02065FD7
	v_cndmask_b32_e64 v51, v44, v46, s[48:49]                  // 00000000A828: D1000033 00C25D2C
	v_perm_b32 v211, v51, v50, s52                             // 00000000A830: D1ED00D3 00D26533
	v_cmp_u_f32_e64 s[48:49], v216, v216                       // 00000000A838: D0480030 0003B1D8
	v_add3_u32 v44, v216, v47, 1                               // 00000000A840: D1FF002C 02065FD8
	v_cndmask_b32_e64 v50, v44, v46, s[48:49]                  // 00000000A848: D1000032 00C25D2C
	v_cmp_u_f32_e64 s[48:49], v217, v217                       // 00000000A850: D0480030 0003B3D9
	v_add3_u32 v44, v217, v47, 1                               // 00000000A858: D1FF002C 02065FD9
	v_cndmask_b32_e64 v51, v44, v46, s[48:49]                  // 00000000A860: D1000033 00C25D2C
	v_perm_b32 v212, v51, v50, s52                             // 00000000A868: D1ED00D4 00D26533
	v_cmp_u_f32_e64 s[48:49], v218, v218                       // 00000000A870: D0480030 0003B5DA
	v_add3_u32 v44, v218, v47, 1                               // 00000000A878: D1FF002C 02065FDA
	v_cndmask_b32_e64 v50, v44, v46, s[48:49]                  // 00000000A880: D1000032 00C25D2C
	v_cmp_u_f32_e64 s[48:49], v219, v219                       // 00000000A888: D0480030 0003B7DB
	v_add3_u32 v44, v219, v47, 1                               // 00000000A890: D1FF002C 02065FDB
	v_cndmask_b32_e64 v51, v44, v46, s[48:49]                  // 00000000A898: D1000033 00C25D2C
	v_perm_b32 v213, v51, v50, s52                             // 00000000A8A0: D1ED00D5 00D26533
	v_cmp_u_f32_e64 s[48:49], v220, v220                       // 00000000A8A8: D0480030 0003B9DC
	v_add3_u32 v44, v220, v47, 1                               // 00000000A8B0: D1FF002C 02065FDC
	v_cndmask_b32_e64 v50, v44, v46, s[48:49]                  // 00000000A8B8: D1000032 00C25D2C
	v_cmp_u_f32_e64 s[48:49], v221, v221                       // 00000000A8C0: D0480030 0003BBDD
	v_add3_u32 v44, v221, v47, 1                               // 00000000A8C8: D1FF002C 02065FDD
	v_cndmask_b32_e64 v51, v44, v46, s[48:49]                  // 00000000A8D0: D1000033 00C25D2C
	v_perm_b32 v214, v51, v50, s52                             // 00000000A8D8: D1ED00D6 00D26533
	v_cmp_u_f32_e64 s[48:49], v222, v222                       // 00000000A8E0: D0480030 0003BDDE
	v_add3_u32 v44, v222, v47, 1                               // 00000000A8E8: D1FF002C 02065FDE
	v_cndmask_b32_e64 v50, v44, v46, s[48:49]                  // 00000000A8F0: D1000032 00C25D2C
	v_cmp_u_f32_e64 s[48:49], v223, v223                       // 00000000A8F8: D0480030 0003BFDF
	v_add3_u32 v44, v223, v47, 1                               // 00000000A900: D1FF002C 02065FDF
	v_cndmask_b32_e64 v51, v44, v46, s[48:49]                  // 00000000A908: D1000033 00C25D2C
	v_perm_b32 v215, v51, v50, s52                             // 00000000A910: D1ED00D7 00D26533
	v_cmp_u_f32_e64 s[48:49], v224, v224                       // 00000000A918: D0480030 0003C1E0
	v_add3_u32 v44, v224, v47, 1                               // 00000000A920: D1FF002C 02065FE0
	v_cndmask_b32_e64 v50, v44, v46, s[48:49]                  // 00000000A928: D1000032 00C25D2C
	v_cmp_u_f32_e64 s[48:49], v225, v225                       // 00000000A930: D0480030 0003C3E1
	v_add3_u32 v44, v225, v47, 1                               // 00000000A938: D1FF002C 02065FE1
	v_cndmask_b32_e64 v51, v44, v46, s[48:49]                  // 00000000A940: D1000033 00C25D2C
	v_perm_b32 v216, v51, v50, s52                             // 00000000A948: D1ED00D8 00D26533
	v_cmp_u_f32_e64 s[48:49], v226, v226                       // 00000000A950: D0480030 0003C5E2
	v_add3_u32 v44, v226, v47, 1                               // 00000000A958: D1FF002C 02065FE2
	v_cndmask_b32_e64 v50, v44, v46, s[48:49]                  // 00000000A960: D1000032 00C25D2C
	v_cmp_u_f32_e64 s[48:49], v227, v227                       // 00000000A968: D0480030 0003C7E3
	v_add3_u32 v44, v227, v47, 1                               // 00000000A970: D1FF002C 02065FE3
	v_cndmask_b32_e64 v51, v44, v46, s[48:49]                  // 00000000A978: D1000033 00C25D2C
	v_perm_b32 v217, v51, v50, s52                             // 00000000A980: D1ED00D9 00D26533
	v_cmp_u_f32_e64 s[48:49], v228, v228                       // 00000000A988: D0480030 0003C9E4
	v_add3_u32 v44, v228, v47, 1                               // 00000000A990: D1FF002C 02065FE4
	v_cndmask_b32_e64 v50, v44, v46, s[48:49]                  // 00000000A998: D1000032 00C25D2C
	v_cmp_u_f32_e64 s[48:49], v229, v229                       // 00000000A9A0: D0480030 0003CBE5
	v_add3_u32 v44, v229, v47, 1                               // 00000000A9A8: D1FF002C 02065FE5
	v_cndmask_b32_e64 v51, v44, v46, s[48:49]                  // 00000000A9B0: D1000033 00C25D2C
	v_perm_b32 v218, v51, v50, s52                             // 00000000A9B8: D1ED00DA 00D26533
	v_cmp_u_f32_e64 s[48:49], v230, v230                       // 00000000A9C0: D0480030 0003CDE6
	v_add3_u32 v44, v230, v47, 1                               // 00000000A9C8: D1FF002C 02065FE6
	v_cndmask_b32_e64 v50, v44, v46, s[48:49]                  // 00000000A9D0: D1000032 00C25D2C
	v_cmp_u_f32_e64 s[48:49], v231, v231                       // 00000000A9D8: D0480030 0003CFE7
	v_add3_u32 v44, v231, v47, 1                               // 00000000A9E0: D1FF002C 02065FE7
	v_cndmask_b32_e64 v51, v44, v46, s[48:49]                  // 00000000A9E8: D1000033 00C25D2C
	v_perm_b32 v219, v51, v50, s52                             // 00000000A9F0: D1ED00DB 00D26533
	v_cmp_u_f32_e64 s[48:49], v232, v232                       // 00000000A9F8: D0480030 0003D1E8
	v_add3_u32 v44, v232, v47, 1                               // 00000000AA00: D1FF002C 02065FE8
	v_cndmask_b32_e64 v50, v44, v46, s[48:49]                  // 00000000AA08: D1000032 00C25D2C
	v_cmp_u_f32_e64 s[48:49], v233, v233                       // 00000000AA10: D0480030 0003D3E9
	v_add3_u32 v44, v233, v47, 1                               // 00000000AA18: D1FF002C 02065FE9
	v_cndmask_b32_e64 v51, v44, v46, s[48:49]                  // 00000000AA20: D1000033 00C25D2C
	v_perm_b32 v220, v51, v50, s52                             // 00000000AA28: D1ED00DC 00D26533
	v_cmp_u_f32_e64 s[48:49], v234, v234                       // 00000000AA30: D0480030 0003D5EA
	v_add3_u32 v44, v234, v47, 1                               // 00000000AA38: D1FF002C 02065FEA
	v_cndmask_b32_e64 v50, v44, v46, s[48:49]                  // 00000000AA40: D1000032 00C25D2C
	v_cmp_u_f32_e64 s[48:49], v235, v235                       // 00000000AA48: D0480030 0003D7EB
	v_add3_u32 v44, v235, v47, 1                               // 00000000AA50: D1FF002C 02065FEB
	v_cndmask_b32_e64 v51, v44, v46, s[48:49]                  // 00000000AA58: D1000033 00C25D2C
	v_perm_b32 v221, v51, v50, s52                             // 00000000AA60: D1ED00DD 00D26533
	v_cmp_u_f32_e64 s[48:49], v236, v236                       // 00000000AA68: D0480030 0003D9EC
	v_add3_u32 v44, v236, v47, 1                               // 00000000AA70: D1FF002C 02065FEC
	v_cndmask_b32_e64 v50, v44, v46, s[48:49]                  // 00000000AA78: D1000032 00C25D2C
	v_cmp_u_f32_e64 s[48:49], v237, v237                       // 00000000AA80: D0480030 0003DBED
	v_add3_u32 v44, v237, v47, 1                               // 00000000AA88: D1FF002C 02065FED
	v_cndmask_b32_e64 v51, v44, v46, s[48:49]                  // 00000000AA90: D1000033 00C25D2C
	v_perm_b32 v222, v51, v50, s52                             // 00000000AA98: D1ED00DE 00D26533
	v_cmp_u_f32_e64 s[48:49], v238, v238                       // 00000000AAA0: D0480030 0003DDEE
	v_add3_u32 v44, v238, v47, 1                               // 00000000AAA8: D1FF002C 02065FEE
	v_cndmask_b32_e64 v50, v44, v46, s[48:49]                  // 00000000AAB0: D1000032 00C25D2C
	v_cmp_u_f32_e64 s[48:49], v239, v239                       // 00000000AAB8: D0480030 0003DFEF
	v_add3_u32 v44, v239, v47, 1                               // 00000000AAC0: D1FF002C 02065FEF
	v_cndmask_b32_e64 v51, v44, v46, s[48:49]                  // 00000000AAC8: D1000033 00C25D2C
	v_perm_b32 v223, v51, v50, s52                             // 00000000AAD0: D1ED00DF 00D26533
	ds_write_b64 v3, v[208:209] offset:30976                   // 00000000AAD8: D89A7900 0000D003
	ds_write_b64 v3, v[210:211] offset:39680                   // 00000000AAE0: D89A9B00 0000D203
	ds_write_b64 v3, v[212:213] offset:33152                   // 00000000AAE8: D89A8180 0000D403
	ds_write_b64 v3, v[214:215] offset:41856                   // 00000000AAF0: D89AA380 0000D603
	ds_write_b64 v3, v[216:217] offset:35328                   // 00000000AAF8: D89A8A00 0000D803
	ds_write_b64 v3, v[218:219] offset:44032                   // 00000000AB00: D89AAC00 0000DA03
	ds_write_b64 v3, v[220:221] offset:37504                   // 00000000AB08: D89A9280 0000DC03
	ds_write_b64 v3, v[222:223] offset:46208                   // 00000000AB10: D89AB480 0000DE03
	s_waitcnt lgkmcnt(0)                                       // 00000000AB18: BF8CC07F
	s_barrier                                                  // 00000000AB1C: BF8A0000
	ds_read_b32 v64, v4 offset:30976                           // 00000000AB20: D86C7900 40000004
	ds_read_b32 v65, v4 offset:35328                           // 00000000AB28: D86C8A00 41000004
	ds_read_b32 v66, v4 offset:31008                           // 00000000AB30: D86C7920 42000004
	ds_read_b32 v67, v4 offset:35360                           // 00000000AB38: D86C8A20 43000004
	ds_read_b32 v68, v4 offset:31040                           // 00000000AB40: D86C7940 44000004
	ds_read_b32 v69, v4 offset:35392                           // 00000000AB48: D86C8A40 45000004
	ds_read_b32 v70, v4 offset:31072                           // 00000000AB50: D86C7960 46000004
	ds_read_b32 v71, v4 offset:35424                           // 00000000AB58: D86C8A60 47000004
	ds_read_b32 v72, v4 offset:39680                           // 00000000AB60: D86C9B00 48000004
	ds_read_b32 v73, v4 offset:44032                           // 00000000AB68: D86CAC00 49000004
	ds_read_b32 v74, v4 offset:39712                           // 00000000AB70: D86C9B20 4A000004
	ds_read_b32 v75, v4 offset:44064                           // 00000000AB78: D86CAC20 4B000004
	ds_read_b32 v76, v4 offset:39744                           // 00000000AB80: D86C9B40 4C000004
	ds_read_b32 v77, v4 offset:44096                           // 00000000AB88: D86CAC40 4D000004
	ds_read_b32 v78, v4 offset:39776                           // 00000000AB90: D86C9B60 4E000004
	ds_read_b32 v79, v4 offset:44128                           // 00000000AB98: D86CAC60 4F000004
	s_waitcnt lgkmcnt(0)                                       // 00000000ABA0: BF8CC07F
	s_mov_b64 exec, s[20:21]                                   // 00000000ABA4: BEFE0114
	global_atomic_pk_add_bf16 v80, v64, s[8:9]                 // 00000000ABA8: DD488000 00084050
	s_mov_b64 exec, s[36:37]                                   // 00000000ABB0: BEFE0124
	s_mov_b64 exec, s[20:21]                                   // 00000000ABB4: BEFE0114
	global_atomic_pk_add_bf16 v80, v65, s[8:9] offset:256      // 00000000ABB8: DD488100 00084150
	s_mov_b64 exec, s[36:37]                                   // 00000000ABC0: BEFE0124
	s_mov_b64 exec, s[22:23]                                   // 00000000ABC4: BEFE0116
	global_atomic_pk_add_bf16 v82, v66, s[8:9]                 // 00000000ABC8: DD488000 00084252
	s_mov_b64 exec, s[36:37]                                   // 00000000ABD0: BEFE0124
	s_mov_b64 exec, s[22:23]                                   // 00000000ABD4: BEFE0116
	global_atomic_pk_add_bf16 v82, v67, s[8:9] offset:256      // 00000000ABD8: DD488100 00084352
	s_mov_b64 exec, s[36:37]                                   // 00000000ABE0: BEFE0124
	s_mov_b64 exec, s[24:25]                                   // 00000000ABE4: BEFE0118
	global_atomic_pk_add_bf16 v84, v68, s[8:9]                 // 00000000ABE8: DD488000 00084454
	s_mov_b64 exec, s[36:37]                                   // 00000000ABF0: BEFE0124
	s_mov_b64 exec, s[24:25]                                   // 00000000ABF4: BEFE0118
	global_atomic_pk_add_bf16 v84, v69, s[8:9] offset:256      // 00000000ABF8: DD488100 00084554
	s_mov_b64 exec, s[36:37]                                   // 00000000AC00: BEFE0124
	s_mov_b64 exec, s[26:27]                                   // 00000000AC04: BEFE011A
	global_atomic_pk_add_bf16 v86, v70, s[8:9]                 // 00000000AC08: DD488000 00084656
	s_mov_b64 exec, s[36:37]                                   // 00000000AC10: BEFE0124
	s_mov_b64 exec, s[26:27]                                   // 00000000AC14: BEFE011A
	global_atomic_pk_add_bf16 v86, v71, s[8:9] offset:256      // 00000000AC18: DD488100 00084756
	s_mov_b64 exec, s[36:37]                                   // 00000000AC20: BEFE0124
	s_mov_b64 exec, s[28:29]                                   // 00000000AC24: BEFE011C
	global_atomic_pk_add_bf16 v88, v72, s[8:9]                 // 00000000AC28: DD488000 00084858
	s_mov_b64 exec, s[36:37]                                   // 00000000AC30: BEFE0124
	s_mov_b64 exec, s[28:29]                                   // 00000000AC34: BEFE011C
	global_atomic_pk_add_bf16 v88, v73, s[8:9] offset:256      // 00000000AC38: DD488100 00084958
	s_mov_b64 exec, s[36:37]                                   // 00000000AC40: BEFE0124
	s_mov_b64 exec, s[30:31]                                   // 00000000AC44: BEFE011E
	global_atomic_pk_add_bf16 v90, v74, s[8:9]                 // 00000000AC48: DD488000 00084A5A
	s_mov_b64 exec, s[36:37]                                   // 00000000AC50: BEFE0124
	s_mov_b64 exec, s[30:31]                                   // 00000000AC54: BEFE011E
	global_atomic_pk_add_bf16 v90, v75, s[8:9] offset:256      // 00000000AC58: DD488100 00084B5A
	s_mov_b64 exec, s[36:37]                                   // 00000000AC60: BEFE0124
	s_mov_b64 exec, s[32:33]                                   // 00000000AC64: BEFE0120
	global_atomic_pk_add_bf16 v92, v76, s[8:9]                 // 00000000AC68: DD488000 00084C5C
	s_mov_b64 exec, s[36:37]                                   // 00000000AC70: BEFE0124
	s_mov_b64 exec, s[32:33]                                   // 00000000AC74: BEFE0120
	global_atomic_pk_add_bf16 v92, v77, s[8:9] offset:256      // 00000000AC78: DD488100 00084D5C
	s_mov_b64 exec, s[36:37]                                   // 00000000AC80: BEFE0124
	s_mov_b64 exec, s[34:35]                                   // 00000000AC84: BEFE0122
	global_atomic_pk_add_bf16 v94, v78, s[8:9]                 // 00000000AC88: DD488000 00084E5E
	s_mov_b64 exec, s[36:37]                                   // 00000000AC90: BEFE0124
	s_mov_b64 exec, s[34:35]                                   // 00000000AC94: BEFE0122
	global_atomic_pk_add_bf16 v94, v79, s[8:9] offset:256      // 00000000AC98: DD488100 00084F5E
	s_mov_b64 exec, s[36:37]                                   // 00000000ACA0: BEFE0124
	s_add_u32 s8, s59, s8                                      // 00000000ACA4: 8008083B
	s_addc_u32 s9, 0, s9                                       // 00000000ACA8: 82090980
	s_addk_i32 s80, 0x100                                      // 00000000ACAC: B7500100
	s_cmp_lt_i32 s80, s81                                      // 00000000ACB0: BF045150
	s_cbranch_scc0 label_1188                                  // 00000000ACB4: BF84F11A
	s_branch label_1AA4                                        // 00000000ACB8: BF82FA35

000000000000acbc <label_206F>:
	s_waitcnt vmcnt(0) expcnt(0) lgkmcnt(0)                    // 00000000ACBC: BF8C0000
	s_endpgm                                                   // 00000000ACC0: BF810000
